;; amdgpu-corpus repo=ROCm/rocFFT kind=compiled arch=gfx1201 opt=O3
	.text
	.amdgcn_target "amdgcn-amd-amdhsa--gfx1201"
	.amdhsa_code_object_version 6
	.protected	fft_rtc_back_len160_factors_2_4_4_5_wgs_200_tpt_10_dim3_sp_ip_CI_sbcc_twdbase8_2step_dirReg ; -- Begin function fft_rtc_back_len160_factors_2_4_4_5_wgs_200_tpt_10_dim3_sp_ip_CI_sbcc_twdbase8_2step_dirReg
	.globl	fft_rtc_back_len160_factors_2_4_4_5_wgs_200_tpt_10_dim3_sp_ip_CI_sbcc_twdbase8_2step_dirReg
	.p2align	8
	.type	fft_rtc_back_len160_factors_2_4_4_5_wgs_200_tpt_10_dim3_sp_ip_CI_sbcc_twdbase8_2step_dirReg,@function
fft_rtc_back_len160_factors_2_4_4_5_wgs_200_tpt_10_dim3_sp_ip_CI_sbcc_twdbase8_2step_dirReg: ; @fft_rtc_back_len160_factors_2_4_4_5_wgs_200_tpt_10_dim3_sp_ip_CI_sbcc_twdbase8_2step_dirReg
; %bb.0:
	s_load_b128 s[8:11], s[0:1], 0x10
	s_mov_b32 s3, 0
	s_mov_b32 s4, 0xcccc3000
	;; [unrolled: 1-line block ×4, first 2 shown]
	s_movk_i32 s6, 0xffec
	s_add_nc_u64 s[4:5], s[2:3], s[4:5]
	s_mov_b32 s7, -1
	s_add_co_i32 s5, s5, 0xccccca0
	s_delay_alu instid0(SALU_CYCLE_1) | instskip(NEXT) | instid1(SALU_CYCLE_1)
	s_mul_u64 s[6:7], s[4:5], s[6:7]
	s_mul_hi_u32 s15, s4, s7
	s_mul_i32 s14, s4, s7
	s_mul_hi_u32 s2, s4, s6
	s_mul_i32 s17, s5, s6
	s_add_nc_u64 s[14:15], s[2:3], s[14:15]
	s_mul_hi_u32 s16, s5, s6
	s_mul_hi_u32 s18, s5, s7
	s_add_co_u32 s2, s14, s17
	s_wait_kmcnt 0x0
	s_load_b64 s[12:13], s[8:9], 0x8
	s_add_co_ci_u32 s2, s15, s16
	s_mul_i32 s6, s5, s7
	s_add_co_ci_u32 s7, s18, 0
	s_delay_alu instid0(SALU_CYCLE_1) | instskip(NEXT) | instid1(SALU_CYCLE_1)
	s_add_nc_u64 s[6:7], s[2:3], s[6:7]
	v_add_co_u32 v1, s2, s4, s6
	s_delay_alu instid0(VALU_DEP_1) | instskip(SKIP_1) | instid1(VALU_DEP_1)
	s_cmp_lg_u32 s2, 0
	s_add_co_ci_u32 s14, s5, s7
	v_readfirstlane_b32 s15, v1
	s_wait_kmcnt 0x0
	s_add_nc_u64 s[4:5], s[12:13], -1
	s_wait_alu 0xfffe
	s_mul_hi_u32 s7, s4, s14
	s_mul_i32 s6, s4, s14
	s_mul_hi_u32 s2, s4, s15
	s_mul_hi_u32 s17, s5, s15
	s_mul_i32 s15, s5, s15
	s_wait_alu 0xfffe
	s_add_nc_u64 s[6:7], s[2:3], s[6:7]
	s_mul_hi_u32 s16, s5, s14
	s_wait_alu 0xfffe
	s_add_co_u32 s2, s6, s15
	s_add_co_ci_u32 s2, s7, s17
	s_mul_i32 s14, s5, s14
	s_add_co_ci_u32 s15, s16, 0
	s_delay_alu instid0(SALU_CYCLE_1) | instskip(SKIP_2) | instid1(SALU_CYCLE_1)
	s_add_nc_u64 s[6:7], s[2:3], s[14:15]
	s_wait_alu 0xfffe
	s_mul_u64 s[14:15], s[6:7], 20
	v_sub_co_u32 v1, s2, s4, s14
	s_delay_alu instid0(VALU_DEP_1) | instskip(SKIP_1) | instid1(VALU_DEP_1)
	s_cmp_lg_u32 s2, 0
	s_sub_co_ci_u32 s16, s5, s15
	v_sub_co_u32 v2, s4, v1, 20
	s_delay_alu instid0(VALU_DEP_1) | instskip(SKIP_2) | instid1(VALU_DEP_2)
	s_cmp_lg_u32 s4, 0
	v_readfirstlane_b32 s17, v1
	s_sub_co_ci_u32 s14, s16, 0
	v_readfirstlane_b32 s2, v2
	s_add_nc_u64 s[4:5], s[6:7], 1
	s_delay_alu instid0(VALU_DEP_1)
	s_cmp_gt_u32 s2, 19
	s_cselect_b32 s2, -1, 0
	s_wait_alu 0xfffe
	s_cmp_eq_u32 s14, 0
	s_add_nc_u64 s[14:15], s[6:7], 2
	s_cselect_b32 s2, s2, -1
	s_delay_alu instid0(SALU_CYCLE_1)
	s_cmp_lg_u32 s2, 0
	s_wait_alu 0xfffe
	s_cselect_b32 s2, s14, s4
	s_cselect_b32 s4, s15, s5
	s_cmp_gt_u32 s17, 19
	s_cselect_b32 s5, -1, 0
	s_cmp_eq_u32 s16, 0
	s_mov_b64 s[16:17], 0
	s_wait_alu 0xfffe
	s_cselect_b32 s5, s5, -1
	s_wait_alu 0xfffe
	s_cmp_lg_u32 s5, 0
	s_cselect_b32 s5, s4, s7
	s_cselect_b32 s4, s2, s6
	s_mov_b32 s2, ttmp9
	s_wait_alu 0xfffe
	s_add_nc_u64 s[14:15], s[4:5], 1
	s_wait_alu 0xfffe
	v_cmp_lt_u64_e64 s4, s[2:3], s[14:15]
	s_delay_alu instid0(VALU_DEP_1)
	s_and_b32 vcc_lo, exec_lo, s4
	s_cbranch_vccnz .LBB0_2
; %bb.1:
	v_cvt_f32_u32_e32 v1, s14
	s_sub_co_i32 s5, 0, s14
	s_mov_b32 s17, s3
	s_delay_alu instid0(VALU_DEP_1) | instskip(NEXT) | instid1(TRANS32_DEP_1)
	v_rcp_iflag_f32_e32 v1, v1
	v_mul_f32_e32 v1, 0x4f7ffffe, v1
	s_delay_alu instid0(VALU_DEP_1) | instskip(NEXT) | instid1(VALU_DEP_1)
	v_cvt_u32_f32_e32 v1, v1
	v_readfirstlane_b32 s4, v1
	s_wait_alu 0xfffe
	s_delay_alu instid0(VALU_DEP_1)
	s_mul_i32 s5, s5, s4
	s_wait_alu 0xfffe
	s_mul_hi_u32 s5, s4, s5
	s_wait_alu 0xfffe
	s_add_co_i32 s4, s4, s5
	s_wait_alu 0xfffe
	s_mul_hi_u32 s4, s2, s4
	s_wait_alu 0xfffe
	s_mul_i32 s5, s4, s14
	s_add_co_i32 s6, s4, 1
	s_wait_alu 0xfffe
	s_sub_co_i32 s5, s2, s5
	s_wait_alu 0xfffe
	s_sub_co_i32 s7, s5, s14
	s_cmp_ge_u32 s5, s14
	s_cselect_b32 s4, s6, s4
	s_wait_alu 0xfffe
	s_cselect_b32 s5, s7, s5
	s_add_co_i32 s6, s4, 1
	s_wait_alu 0xfffe
	s_cmp_ge_u32 s5, s14
	s_cselect_b32 s16, s6, s4
.LBB0_2:
	s_load_b64 s[8:9], s[8:9], 0x10
	s_mov_b64 s[18:19], s[16:17]
	s_wait_kmcnt 0x0
	v_cmp_lt_u64_e64 s4, s[16:17], s[8:9]
	s_delay_alu instid0(VALU_DEP_1)
	s_and_b32 vcc_lo, exec_lo, s4
	s_cbranch_vccnz .LBB0_4
; %bb.3:
	v_cvt_f32_u32_e32 v1, s8
	s_sub_co_i32 s5, 0, s8
	s_mov_b32 s19, 0
	s_delay_alu instid0(VALU_DEP_1) | instskip(NEXT) | instid1(TRANS32_DEP_1)
	v_rcp_iflag_f32_e32 v1, v1
	v_mul_f32_e32 v1, 0x4f7ffffe, v1
	s_delay_alu instid0(VALU_DEP_1) | instskip(NEXT) | instid1(VALU_DEP_1)
	v_cvt_u32_f32_e32 v1, v1
	v_readfirstlane_b32 s4, v1
	s_wait_alu 0xfffe
	s_delay_alu instid0(VALU_DEP_1)
	s_mul_i32 s5, s5, s4
	s_wait_alu 0xfffe
	s_mul_hi_u32 s5, s4, s5
	s_wait_alu 0xfffe
	s_add_co_i32 s4, s4, s5
	s_wait_alu 0xfffe
	s_mul_hi_u32 s4, s16, s4
	s_wait_alu 0xfffe
	s_mul_i32 s4, s4, s8
	s_wait_alu 0xfffe
	s_sub_co_i32 s4, s16, s4
	s_wait_alu 0xfffe
	s_sub_co_i32 s5, s4, s8
	s_cmp_ge_u32 s4, s8
	s_wait_alu 0xfffe
	s_cselect_b32 s4, s5, s4
	s_wait_alu 0xfffe
	s_sub_co_i32 s5, s4, s8
	s_cmp_ge_u32 s4, s8
	s_wait_alu 0xfffe
	s_cselect_b32 s18, s5, s4
.LBB0_4:
	s_clause 0x1
	s_load_b128 s[4:7], s[10:11], 0x0
	s_load_b64 s[20:21], s[10:11], 0x10
	s_mul_u64 s[8:9], s[8:9], s[14:15]
	s_mov_b64 s[22:23], 0
	s_wait_alu 0xfffe
	v_cmp_lt_u64_e64 s9, s[2:3], s[8:9]
	s_delay_alu instid0(VALU_DEP_1)
	s_and_b32 vcc_lo, exec_lo, s9
	s_cbranch_vccnz .LBB0_6
; %bb.5:
	v_cvt_f32_u32_e32 v1, s8
	s_sub_co_i32 s22, 0, s8
	s_delay_alu instid0(VALU_DEP_1) | instskip(NEXT) | instid1(TRANS32_DEP_1)
	v_rcp_iflag_f32_e32 v1, v1
	v_mul_f32_e32 v1, 0x4f7ffffe, v1
	s_delay_alu instid0(VALU_DEP_1) | instskip(NEXT) | instid1(VALU_DEP_1)
	v_cvt_u32_f32_e32 v1, v1
	v_readfirstlane_b32 s9, v1
	s_delay_alu instid0(VALU_DEP_1) | instskip(NEXT) | instid1(SALU_CYCLE_1)
	s_mul_i32 s22, s22, s9
	s_mul_hi_u32 s22, s9, s22
	s_delay_alu instid0(SALU_CYCLE_1)
	s_add_co_i32 s9, s9, s22
	s_wait_alu 0xfffe
	s_mul_hi_u32 s9, s2, s9
	s_wait_alu 0xfffe
	s_mul_i32 s22, s9, s8
	s_add_co_i32 s23, s9, 1
	s_sub_co_i32 s22, s2, s22
	s_delay_alu instid0(SALU_CYCLE_1)
	s_sub_co_i32 s24, s22, s8
	s_cmp_ge_u32 s22, s8
	s_cselect_b32 s9, s23, s9
	s_cselect_b32 s22, s24, s22
	s_wait_alu 0xfffe
	s_add_co_i32 s24, s9, 1
	s_cmp_ge_u32 s22, s8
	s_mov_b32 s23, 0
	s_cselect_b32 s22, s24, s9
.LBB0_6:
	v_mul_u32_u24_e32 v1, 0xccd, v0
	s_load_b64 s[10:11], s[10:11], 0x18
	s_mul_u64 s[8:9], s[16:17], s[14:15]
	s_wait_alu 0xfffe
	s_sub_nc_u64 s[2:3], s[2:3], s[8:9]
	v_lshrrev_b32_e32 v103, 16, v1
	s_clause 0x1
	s_load_b64 s[14:15], s[0:1], 0x0
	s_load_b64 s[8:9], s[0:1], 0x50
	s_mul_u64 s[16:17], s[2:3], 20
	s_wait_kmcnt 0x0
	s_mul_u64 s[2:3], s[20:21], s[18:19]
	s_wait_alu 0xfffe
	s_mul_u64 s[18:19], s[6:7], s[16:17]
	v_mul_lo_u16 v1, v103, 20
	s_add_nc_u64 s[20:21], s[16:17], 20
	s_add_nc_u64 s[18:19], s[2:3], s[18:19]
	v_cmp_gt_u64_e64 s2, s[20:21], s[12:13]
	v_cmp_le_u64_e64 s3, s[20:21], s[12:13]
	v_sub_nc_u16 v1, v0, v1
	v_add_nc_u32_e32 v34, 10, v103
	v_add_nc_u32_e32 v35, 20, v103
	;; [unrolled: 1-line block ×3, first 2 shown]
	s_and_b32 vcc_lo, exec_lo, s2
	v_and_b32_e32 v104, 0xffff, v1
	v_add_nc_u32_e32 v37, 40, v103
	s_mul_u64 s[10:11], s[10:11], s[22:23]
	s_delay_alu instid0(SALU_CYCLE_1) | instskip(NEXT) | instid1(VALU_DEP_2)
	s_add_nc_u64 s[10:11], s[10:11], s[18:19]
	v_add_co_u32 v65, s2, s16, v104
	s_wait_alu 0xf1ff
	v_add_co_ci_u32_e64 v66, null, s17, 0, s2
	s_mov_b32 s2, 0
	s_cbranch_vccnz .LBB0_8
; %bb.7:
	v_mad_co_u64_u32 v[1:2], null, s6, v104, 0
	v_mad_co_u64_u32 v[3:4], null, s4, v103, 0
	v_or_b32_e32 v11, 0x50, v103
	s_lshl_b64 s[16:17], s[10:11], 3
	v_add_nc_u32_e32 v106, 20, v103
	s_wait_alu 0xfffe
	s_add_nc_u64 s[16:17], s[8:9], s[16:17]
	v_add_nc_u32_e32 v33, 40, v103
	v_mad_co_u64_u32 v[5:6], null, s4, v11, 0
	v_mad_co_u64_u32 v[7:8], null, s7, v104, v[2:3]
	v_add_nc_u32_e32 v107, 10, v103
	v_add_nc_u32_e32 v13, 0x5a, v103
	;; [unrolled: 1-line block ×4, first 2 shown]
	v_mad_co_u64_u32 v[8:9], null, s5, v103, v[4:5]
	v_mov_b32_e32 v2, v7
	v_mov_b32_e32 v4, v6
	v_mad_co_u64_u32 v[9:10], null, s4, v107, 0
	v_mad_co_u64_u32 v[30:31], null, s4, v32, 0
	s_delay_alu instid0(VALU_DEP_4) | instskip(NEXT) | instid1(VALU_DEP_4)
	v_lshlrev_b64_e32 v[1:2], 3, v[1:2]
	v_mad_co_u64_u32 v[6:7], null, s5, v11, v[4:5]
	v_add_nc_u32_e32 v29, 50, v103
	v_mad_co_u64_u32 v[18:19], null, s4, v105, 0
	s_wait_alu 0xfffe
	s_delay_alu instid0(VALU_DEP_4)
	v_add_co_u32 v43, vcc_lo, s16, v1
	v_add_co_ci_u32_e32 v44, vcc_lo, s17, v2, vcc_lo
	v_mad_co_u64_u32 v[1:2], null, s5, v107, v[10:11]
	v_mad_co_u64_u32 v[11:12], null, s4, v106, 0
	v_mov_b32_e32 v4, v8
	v_mad_co_u64_u32 v[7:8], null, s4, v13, 0
	v_lshlrev_b64_e32 v[5:6], 3, v[5:6]
	v_mov_b32_e32 v10, v1
	v_mad_co_u64_u32 v[26:27], null, s4, v29, 0
	v_mov_b32_e32 v1, v12
	v_lshlrev_b64_e32 v[3:4], 3, v[3:4]
	v_dual_mov_b32 v2, v8 :: v_dual_add_nc_u32 v23, 0x6e, v103
	v_add_nc_u32_e32 v42, 0x96, v103
	s_delay_alu instid0(VALU_DEP_3) | instskip(SKIP_1) | instid1(VALU_DEP_4)
	v_add_co_u32 v3, vcc_lo, v43, v3
	s_wait_alu 0xfffd
	v_add_co_ci_u32_e32 v4, vcc_lo, v44, v4, vcc_lo
	s_delay_alu instid0(VALU_DEP_3) | instskip(NEXT) | instid1(VALU_DEP_3)
	v_mad_co_u64_u32 v[40:41], null, s4, v42, 0
	v_mad_co_u64_u32 v[13:14], null, s5, v13, v[2:3]
	v_add_co_u32 v14, vcc_lo, v43, v5
	s_wait_alu 0xfffd
	v_add_co_ci_u32_e32 v15, vcc_lo, v44, v6, vcc_lo
	v_lshlrev_b64_e32 v[5:6], 3, v[9:10]
	s_delay_alu instid0(VALU_DEP_4) | instskip(SKIP_1) | instid1(VALU_DEP_3)
	v_dual_mov_b32 v8, v13 :: v_dual_add_nc_u32 v13, 0x64, v103
	v_mad_co_u64_u32 v[1:2], null, s5, v106, v[1:2]
	v_add_co_u32 v9, vcc_lo, v43, v5
	s_wait_alu 0xfffd
	s_delay_alu instid0(VALU_DEP_4) | instskip(SKIP_3) | instid1(VALU_DEP_3)
	v_add_co_ci_u32_e32 v10, vcc_lo, v44, v6, vcc_lo
	v_lshlrev_b64_e32 v[5:6], 3, v[7:8]
	v_mad_co_u64_u32 v[16:17], null, s4, v13, 0
	v_mov_b32_e32 v12, v1
	v_add_co_u32 v1, vcc_lo, v43, v5
	s_wait_alu 0xfffd
	s_delay_alu instid0(VALU_DEP_4) | instskip(NEXT) | instid1(VALU_DEP_4)
	v_add_co_ci_u32_e32 v2, vcc_lo, v44, v6, vcc_lo
	v_dual_mov_b32 v5, v17 :: v_dual_mov_b32 v6, v19
	s_delay_alu instid0(VALU_DEP_1)
	v_mad_co_u64_u32 v[19:20], null, s5, v13, v[5:6]
	v_mad_co_u64_u32 v[20:21], null, s5, v105, v[6:7]
	;; [unrolled: 1-line block ×3, first 2 shown]
	s_clause 0x3
	global_load_b64 v[5:6], v[3:4], off
	global_load_b64 v[7:8], v[14:15], off
	;; [unrolled: 1-line block ×4, first 2 shown]
	v_mov_b32_e32 v17, v19
	v_lshlrev_b64_e32 v[11:12], 3, v[11:12]
	s_delay_alu instid0(VALU_DEP_1) | instskip(SKIP_2) | instid1(VALU_DEP_3)
	v_add_co_u32 v9, vcc_lo, v43, v11
	v_mov_b32_e32 v11, v22
	s_wait_alu 0xfffd
	v_add_co_ci_u32_e32 v10, vcc_lo, v44, v12, vcc_lo
	v_lshlrev_b64_e32 v[12:13], 3, v[16:17]
	s_delay_alu instid0(VALU_DEP_1) | instskip(SKIP_3) | instid1(VALU_DEP_4)
	v_mad_co_u64_u32 v[14:15], null, s5, v23, v[11:12]
	v_mov_b32_e32 v19, v20
	v_add_co_u32 v11, vcc_lo, v43, v12
	s_wait_alu 0xfffd
	v_add_co_ci_u32_e32 v12, vcc_lo, v44, v13, vcc_lo
	s_delay_alu instid0(VALU_DEP_4) | instskip(SKIP_3) | instid1(VALU_DEP_3)
	v_mov_b32_e32 v22, v14
	v_lshlrev_b64_e32 v[15:16], 3, v[18:19]
	v_mad_co_u64_u32 v[17:18], null, s4, v33, 0
	v_add_nc_u32_e32 v28, 0x78, v103
	v_add_co_u32 v19, vcc_lo, v43, v15
	v_lshlrev_b64_e32 v[14:15], 3, v[21:22]
	s_delay_alu instid0(VALU_DEP_4) | instskip(NEXT) | instid1(VALU_DEP_4)
	v_mov_b32_e32 v13, v18
	v_mad_co_u64_u32 v[21:22], null, s4, v28, 0
	s_wait_alu 0xfffd
	v_add_co_ci_u32_e32 v20, vcc_lo, v44, v16, vcc_lo
	s_delay_alu instid0(VALU_DEP_3) | instskip(SKIP_1) | instid1(VALU_DEP_4)
	v_mad_co_u64_u32 v[23:24], null, s5, v33, v[13:14]
	v_add_co_u32 v24, vcc_lo, v43, v14
	v_mov_b32_e32 v13, v22
	s_wait_alu 0xfffd
	v_add_co_ci_u32_e32 v25, vcc_lo, v44, v15, vcc_lo
	s_delay_alu instid0(VALU_DEP_4) | instskip(NEXT) | instid1(VALU_DEP_3)
	v_mov_b32_e32 v18, v23
	v_mad_co_u64_u32 v[22:23], null, s5, v28, v[13:14]
	s_clause 0x3
	global_load_b64 v[13:14], v[9:10], off
	global_load_b64 v[15:16], v[11:12], off
	;; [unrolled: 1-line block ×4, first 2 shown]
	v_mov_b32_e32 v19, v27
	v_add_nc_u32_e32 v25, 0x82, v103
	v_lshlrev_b64_e32 v[17:18], 3, v[17:18]
	s_delay_alu instid0(VALU_DEP_3) | instskip(NEXT) | instid1(VALU_DEP_3)
	v_mad_co_u64_u32 v[19:20], null, s5, v29, v[19:20]
	v_mad_co_u64_u32 v[23:24], null, s4, v25, 0
	v_lshlrev_b64_e32 v[20:21], 3, v[21:22]
	v_add_nc_u32_e32 v22, 60, v103
	v_add_co_u32 v17, vcc_lo, v43, v17
	v_mov_b32_e32 v27, v19
	s_wait_alu 0xfffd
	v_add_co_ci_u32_e32 v18, vcc_lo, v44, v18, vcc_lo
	v_mad_co_u64_u32 v[28:29], null, s4, v22, 0
	v_mov_b32_e32 v19, v24
	s_delay_alu instid0(VALU_DEP_1)
	v_mad_co_u64_u32 v[24:25], null, s5, v25, v[19:20]
	v_add_co_u32 v19, vcc_lo, v43, v20
	v_lshlrev_b64_e32 v[25:26], 3, v[26:27]
	v_add_nc_u32_e32 v27, 0x46, v103
	s_wait_alu 0xfffd
	v_add_co_ci_u32_e32 v20, vcc_lo, v44, v21, vcc_lo
	v_mov_b32_e32 v21, v29
	s_delay_alu instid0(VALU_DEP_3) | instskip(SKIP_1) | instid1(VALU_DEP_3)
	v_mad_co_u64_u32 v[38:39], null, s4, v27, 0
	v_add_co_u32 v25, vcc_lo, v43, v25
	v_mad_co_u64_u32 v[21:22], null, s5, v22, v[21:22]
	v_mov_b32_e32 v22, v31
	s_wait_alu 0xfffd
	v_add_co_ci_u32_e32 v26, vcc_lo, v44, v26, vcc_lo
	s_delay_alu instid0(VALU_DEP_2) | instskip(SKIP_2) | instid1(VALU_DEP_1)
	v_mad_co_u64_u32 v[31:32], null, s5, v32, v[22:23]
	v_lshlrev_b64_e32 v[23:24], 3, v[23:24]
	v_dual_mov_b32 v22, v39 :: v_dual_mov_b32 v29, v21
	v_mad_co_u64_u32 v[21:22], null, s5, v27, v[22:23]
	v_mov_b32_e32 v22, v41
	v_add_co_u32 v23, vcc_lo, v43, v23
	s_delay_alu instid0(VALU_DEP_4)
	v_lshlrev_b64_e32 v[27:28], 3, v[28:29]
	v_lshlrev_b64_e32 v[29:30], 3, v[30:31]
	s_wait_alu 0xfffd
	v_add_co_ci_u32_e32 v24, vcc_lo, v44, v24, vcc_lo
	v_mad_co_u64_u32 v[41:42], null, s5, v42, v[22:23]
	v_mov_b32_e32 v39, v21
	v_add_co_u32 v21, vcc_lo, v43, v27
	s_wait_alu 0xfffd
	v_add_co_ci_u32_e32 v22, vcc_lo, v44, v28, vcc_lo
	s_delay_alu instid0(VALU_DEP_3) | instskip(SKIP_4) | instid1(VALU_DEP_4)
	v_lshlrev_b64_e32 v[27:28], 3, v[38:39]
	v_add_co_u32 v38, vcc_lo, v43, v29
	s_wait_alu 0xfffd
	v_add_co_ci_u32_e32 v39, vcc_lo, v44, v30, vcc_lo
	v_lshlrev_b64_e32 v[29:30], 3, v[40:41]
	v_add_co_u32 v40, vcc_lo, v43, v27
	s_wait_alu 0xfffd
	v_add_co_ci_u32_e32 v41, vcc_lo, v44, v28, vcc_lo
	s_delay_alu instid0(VALU_DEP_3)
	v_add_co_u32 v42, vcc_lo, v43, v29
	s_wait_alu 0xfffd
	v_add_co_ci_u32_e32 v43, vcc_lo, v44, v30, vcc_lo
	s_clause 0x7
	global_load_b64 v[29:30], v[17:18], off
	global_load_b64 v[31:32], v[19:20], off
	;; [unrolled: 1-line block ×8, first 2 shown]
	s_and_not1_b32 vcc_lo, exec_lo, s2
	s_wait_alu 0xfffe
	s_cbranch_vccz .LBB0_9
	s_branch .LBB0_14
.LBB0_8:
                                        ; implicit-def: $vgpr1
                                        ; implicit-def: $vgpr9
                                        ; implicit-def: $vgpr19
                                        ; implicit-def: $vgpr23
                                        ; implicit-def: $vgpr17
                                        ; implicit-def: $vgpr27
                                        ; implicit-def: $vgpr21
                                        ; implicit-def: $vgpr25
                                        ; implicit-def: $vgpr31
                                        ; implicit-def: $vgpr29
                                        ; implicit-def: $vgpr11
                                        ; implicit-def: $vgpr15
                                        ; implicit-def: $vgpr13
                                        ; implicit-def: $vgpr3
                                        ; implicit-def: $vgpr7
                                        ; implicit-def: $vgpr5
                                        ; implicit-def: $vgpr107
                                        ; implicit-def: $vgpr106
                                        ; implicit-def: $vgpr105
                                        ; implicit-def: $vgpr33
.LBB0_9:
	s_mov_b32 s2, exec_lo
                                        ; implicit-def: $vgpr107
                                        ; implicit-def: $vgpr106
                                        ; implicit-def: $vgpr105
                                        ; implicit-def: $vgpr33
	s_delay_alu instid0(VALU_DEP_1)
	v_cmpx_le_u64_e64 s[12:13], v[65:66]
	s_wait_alu 0xfffe
	s_xor_b32 s2, exec_lo, s2
; %bb.10:
	v_add_nc_u32_e32 v107, 10, v103
	v_add_nc_u32_e32 v106, 20, v103
	;; [unrolled: 1-line block ×4, first 2 shown]
                                        ; implicit-def: $vgpr34
                                        ; implicit-def: $vgpr35
                                        ; implicit-def: $vgpr36
                                        ; implicit-def: $vgpr37
; %bb.11:
	s_wait_alu 0xfffe
	s_or_saveexec_b32 s2, s2
                                        ; implicit-def: $vgpr1
                                        ; implicit-def: $vgpr9
                                        ; implicit-def: $vgpr19
                                        ; implicit-def: $vgpr23
                                        ; implicit-def: $vgpr17
                                        ; implicit-def: $vgpr27
                                        ; implicit-def: $vgpr21
                                        ; implicit-def: $vgpr25
                                        ; implicit-def: $vgpr31
                                        ; implicit-def: $vgpr29
                                        ; implicit-def: $vgpr11
                                        ; implicit-def: $vgpr15
                                        ; implicit-def: $vgpr13
                                        ; implicit-def: $vgpr3
                                        ; implicit-def: $vgpr7
                                        ; implicit-def: $vgpr5
	s_wait_alu 0xfffe
	s_xor_b32 exec_lo, exec_lo, s2
	s_cbranch_execz .LBB0_13
; %bb.12:
	s_wait_loadcnt 0x9
	v_or_b32_e32 v11, 0x50, v103
	v_mad_co_u64_u32 v[1:2], null, s6, v104, 0
	v_mad_co_u64_u32 v[3:4], null, s4, v103, 0
	s_delay_alu instid0(VALU_DEP_3) | instskip(SKIP_3) | instid1(VALU_DEP_4)
	v_mad_co_u64_u32 v[5:6], null, s4, v11, 0
	v_add_nc_u32_e32 v12, 0x5a, v103
	s_lshl_b64 s[16:17], s[10:11], 3
	v_mad_co_u64_u32 v[15:16], null, s4, v36, 0
	v_mad_co_u64_u32 v[7:8], null, s7, v104, v[2:3]
	s_wait_loadcnt 0x8
	s_delay_alu instid0(VALU_DEP_4) | instskip(SKIP_4) | instid1(VALU_DEP_4)
	v_mad_co_u64_u32 v[8:9], null, s5, v103, v[4:5]
	v_mov_b32_e32 v4, v6
	v_mad_co_u64_u32 v[9:10], null, s4, v34, 0
	s_wait_alu 0xfffe
	s_add_nc_u64 s[16:17], s[8:9], s[16:17]
	v_mov_b32_e32 v2, v7
	v_mad_co_u64_u32 v[6:7], null, s5, v11, v[4:5]
	s_wait_loadcnt 0x3
	v_dual_mov_b32 v4, v8 :: v_dual_add_nc_u32 v21, 0x64, v103
	v_mad_co_u64_u32 v[7:8], null, s4, v12, 0
	v_lshlrev_b64_e32 v[1:2], 3, v[1:2]
	v_mad_co_u64_u32 v[10:11], null, s5, v34, v[10:11]
	s_delay_alu instid0(VALU_DEP_4)
	v_lshlrev_b64_e32 v[3:4], 3, v[3:4]
	v_lshlrev_b64_e32 v[5:6], 3, v[5:6]
	s_wait_loadcnt 0x2
	v_add_nc_u32_e32 v28, 50, v103
	s_wait_alu 0xfffe
	v_add_co_u32 v43, vcc_lo, s16, v1
	v_mov_b32_e32 v1, v8
	s_wait_alu 0xfffd
	v_add_co_ci_u32_e32 v44, vcc_lo, s17, v2, vcc_lo
	v_mad_co_u64_u32 v[26:27], null, s4, v28, 0
	s_delay_alu instid0(VALU_DEP_3) | instskip(SKIP_4) | instid1(VALU_DEP_4)
	v_mad_co_u64_u32 v[1:2], null, s5, v12, v[1:2]
	v_mad_co_u64_u32 v[11:12], null, s4, v35, 0
	v_add_co_u32 v2, vcc_lo, v43, v3
	s_wait_alu 0xfffd
	v_add_co_ci_u32_e32 v3, vcc_lo, v44, v4, vcc_lo
	v_dual_mov_b32 v8, v1 :: v_dual_add_nc_u32 v25, 0x6e, v103
	s_delay_alu instid0(VALU_DEP_4)
	v_mov_b32_e32 v1, v12
	v_add_co_u32 v13, vcc_lo, v43, v5
	s_wait_alu 0xfffd
	v_add_co_ci_u32_e32 v14, vcc_lo, v44, v6, vcc_lo
	v_lshlrev_b64_e32 v[4:5], 3, v[9:10]
	v_lshlrev_b64_e32 v[6:7], 3, v[7:8]
	v_mad_co_u64_u32 v[8:9], null, s5, v35, v[1:2]
	v_mad_co_u64_u32 v[9:10], null, s4, v21, 0
	s_wait_loadcnt 0x1
	s_delay_alu instid0(VALU_DEP_4)
	v_add_co_u32 v17, vcc_lo, v43, v4
	v_mov_b32_e32 v4, v16
	s_wait_alu 0xfffd
	v_add_co_ci_u32_e32 v18, vcc_lo, v44, v5, vcc_lo
	v_add_co_u32 v19, vcc_lo, v43, v6
	v_mov_b32_e32 v1, v10
	s_wait_alu 0xfffd
	v_add_co_ci_u32_e32 v20, vcc_lo, v44, v7, vcc_lo
	v_dual_mov_b32 v107, v34 :: v_dual_add_nc_u32 v38, 0x8c, v103
	v_mov_b32_e32 v106, v35
	v_mad_co_u64_u32 v[21:22], null, s5, v21, v[1:2]
	s_wait_loadcnt 0x0
	v_mad_co_u64_u32 v[22:23], null, s5, v36, v[4:5]
	v_mad_co_u64_u32 v[23:24], null, s4, v25, 0
	v_mov_b32_e32 v12, v8
	s_clause 0x3
	global_load_b64 v[5:6], v[2:3], off
	global_load_b64 v[7:8], v[13:14], off
	;; [unrolled: 1-line block ×4, first 2 shown]
	v_mov_b32_e32 v10, v21
	v_mad_co_u64_u32 v[17:18], null, s4, v37, 0
	v_dual_mov_b32 v16, v22 :: v_dual_mov_b32 v13, v24
	v_lshlrev_b64_e32 v[11:12], 3, v[11:12]
	s_delay_alu instid0(VALU_DEP_4) | instskip(SKIP_1) | instid1(VALU_DEP_4)
	v_lshlrev_b64_e32 v[9:10], 3, v[9:10]
	v_mad_co_u64_u32 v[30:31], null, s4, v38, 0
	v_mad_co_u64_u32 v[13:14], null, s5, v25, v[13:14]
	s_delay_alu instid0(VALU_DEP_4)
	v_add_co_u32 v11, vcc_lo, v43, v11
	v_lshlrev_b64_e32 v[14:15], 3, v[15:16]
	s_wait_alu 0xfffd
	v_add_co_ci_u32_e32 v12, vcc_lo, v44, v12, vcc_lo
	v_add_co_u32 v9, vcc_lo, v43, v9
	v_mov_b32_e32 v24, v13
	v_add_nc_u32_e32 v16, 0x78, v103
	s_wait_alu 0xfffd
	v_add_co_ci_u32_e32 v10, vcc_lo, v44, v10, vcc_lo
	v_add_co_u32 v19, vcc_lo, v43, v14
	s_wait_alu 0xfffd
	v_add_co_ci_u32_e32 v20, vcc_lo, v44, v15, vcc_lo
	v_lshlrev_b64_e32 v[14:15], 3, v[23:24]
	v_mov_b32_e32 v13, v18
	v_mad_co_u64_u32 v[21:22], null, s4, v16, 0
	v_mov_b32_e32 v105, v36
	s_delay_alu instid0(VALU_DEP_3) | instskip(SKIP_1) | instid1(VALU_DEP_4)
	v_mad_co_u64_u32 v[23:24], null, s5, v37, v[13:14]
	v_add_co_u32 v24, vcc_lo, v43, v14
	v_mov_b32_e32 v13, v22
	s_wait_alu 0xfffd
	v_add_co_ci_u32_e32 v25, vcc_lo, v44, v15, vcc_lo
	s_delay_alu instid0(VALU_DEP_4) | instskip(NEXT) | instid1(VALU_DEP_3)
	v_mov_b32_e32 v18, v23
	v_mad_co_u64_u32 v[22:23], null, s5, v16, v[13:14]
	s_clause 0x3
	global_load_b64 v[13:14], v[11:12], off
	global_load_b64 v[15:16], v[9:10], off
	;; [unrolled: 1-line block ×4, first 2 shown]
	v_mov_b32_e32 v19, v27
	v_add_nc_u32_e32 v25, 0x82, v103
	v_lshlrev_b64_e32 v[17:18], 3, v[17:18]
	s_delay_alu instid0(VALU_DEP_3) | instskip(NEXT) | instid1(VALU_DEP_3)
	v_mad_co_u64_u32 v[19:20], null, s5, v28, v[19:20]
	v_mad_co_u64_u32 v[23:24], null, s4, v25, 0
	v_lshlrev_b64_e32 v[20:21], 3, v[21:22]
	v_add_nc_u32_e32 v22, 60, v103
	v_add_co_u32 v17, vcc_lo, v43, v17
	v_mov_b32_e32 v27, v19
	s_wait_alu 0xfffd
	v_add_co_ci_u32_e32 v18, vcc_lo, v44, v18, vcc_lo
	v_mad_co_u64_u32 v[28:29], null, s4, v22, 0
	v_mov_b32_e32 v19, v24
	s_delay_alu instid0(VALU_DEP_1)
	v_mad_co_u64_u32 v[24:25], null, s5, v25, v[19:20]
	v_add_co_u32 v19, vcc_lo, v43, v20
	s_wait_alu 0xfffd
	v_add_co_ci_u32_e32 v20, vcc_lo, v44, v21, vcc_lo
	v_mov_b32_e32 v21, v29
	v_lshlrev_b64_e32 v[25:26], 3, v[26:27]
	v_add_nc_u32_e32 v27, 0x46, v103
	s_delay_alu instid0(VALU_DEP_3) | instskip(SKIP_1) | instid1(VALU_DEP_3)
	v_mad_co_u64_u32 v[21:22], null, s5, v22, v[21:22]
	v_mov_b32_e32 v22, v31
	v_mad_co_u64_u32 v[32:33], null, s4, v27, 0
	v_add_nc_u32_e32 v41, 0x96, v103
	v_add_co_u32 v25, vcc_lo, v43, v25
	s_delay_alu instid0(VALU_DEP_4)
	v_mad_co_u64_u32 v[38:39], null, s5, v38, v[22:23]
	v_lshlrev_b64_e32 v[23:24], 3, v[23:24]
	v_mov_b32_e32 v22, v33
	v_mad_co_u64_u32 v[39:40], null, s4, v41, 0
	v_mov_b32_e32 v29, v21
	s_wait_alu 0xfffd
	v_add_co_ci_u32_e32 v26, vcc_lo, v44, v26, vcc_lo
	v_mad_co_u64_u32 v[21:22], null, s5, v27, v[22:23]
	s_delay_alu instid0(VALU_DEP_4) | instskip(SKIP_2) | instid1(VALU_DEP_3)
	v_dual_mov_b32 v31, v38 :: v_dual_mov_b32 v22, v40
	v_add_co_u32 v23, vcc_lo, v43, v23
	v_lshlrev_b64_e32 v[27:28], 3, v[28:29]
	v_lshlrev_b64_e32 v[29:30], 3, v[30:31]
	v_mov_b32_e32 v33, v21
	s_delay_alu instid0(VALU_DEP_4)
	v_mad_co_u64_u32 v[40:41], null, s5, v41, v[22:23]
	s_wait_alu 0xfffd
	v_add_co_ci_u32_e32 v24, vcc_lo, v44, v24, vcc_lo
	v_add_co_u32 v21, vcc_lo, v43, v27
	s_wait_alu 0xfffd
	v_add_co_ci_u32_e32 v22, vcc_lo, v44, v28, vcc_lo
	v_lshlrev_b64_e32 v[27:28], 3, v[32:33]
	v_add_co_u32 v41, vcc_lo, v43, v29
	s_wait_alu 0xfffd
	v_add_co_ci_u32_e32 v42, vcc_lo, v44, v30, vcc_lo
	v_lshlrev_b64_e32 v[29:30], 3, v[39:40]
	s_delay_alu instid0(VALU_DEP_4) | instskip(SKIP_3) | instid1(VALU_DEP_4)
	v_add_co_u32 v38, vcc_lo, v43, v27
	s_wait_alu 0xfffd
	v_add_co_ci_u32_e32 v39, vcc_lo, v44, v28, vcc_lo
	v_mov_b32_e32 v33, v37
	v_add_co_u32 v43, vcc_lo, v43, v29
	s_wait_alu 0xfffd
	v_add_co_ci_u32_e32 v44, vcc_lo, v44, v30, vcc_lo
	s_clause 0x7
	global_load_b64 v[29:30], v[17:18], off
	global_load_b64 v[31:32], v[19:20], off
	;; [unrolled: 1-line block ×8, first 2 shown]
.LBB0_13:
	s_or_b32 exec_lo, exec_lo, s2
.LBB0_14:
	s_wait_loadcnt 0xc
	v_dual_sub_f32 v34, v3, v1 :: v_dual_sub_f32 v35, v4, v2
	v_dual_sub_f32 v7, v5, v7 :: v_dual_sub_f32 v8, v6, v8
	v_lshlrev_b32_e32 v1, 3, v104
	s_delay_alu instid0(VALU_DEP_3) | instskip(NEXT) | instid1(VALU_DEP_4)
	v_fma_f32 v2, v3, 2.0, -v34
	v_fma_f32 v3, v4, 2.0, -v35
	v_mul_u32_u24_e32 v4, 0x140, v103
	v_mul_i32_i24_e32 v36, 0x140, v107
	s_wait_loadcnt 0xa
	v_dual_sub_f32 v15, v13, v15 :: v_dual_sub_f32 v16, v14, v16
	v_mul_i32_i24_e32 v37, 0x140, v106
	s_wait_loadcnt 0x8
	v_dual_sub_f32 v9, v11, v9 :: v_dual_sub_f32 v10, v12, v10
	v_mul_i32_i24_e32 v38, 0x140, v105
	v_fma_f32 v5, v5, 2.0, -v7
	v_fma_f32 v6, v6, 2.0, -v8
	v_add3_u32 v4, 0, v4, v1
	v_add3_u32 v36, 0, v36, v1
	v_fma_f32 v13, v13, 2.0, -v15
	v_fma_f32 v14, v14, 2.0, -v16
	v_add3_u32 v37, 0, v37, v1
	v_fma_f32 v11, v11, 2.0, -v9
	v_fma_f32 v12, v12, 2.0, -v10
	v_add3_u32 v38, 0, v38, v1
	s_wait_loadcnt 0x6
	v_dual_sub_f32 v31, v29, v31 :: v_dual_sub_f32 v32, v30, v32
	ds_store_2addr_b64 v4, v[5:6], v[7:8] offset1:20
	v_mul_i32_i24_e32 v5, 0x140, v33
	ds_store_2addr_b64 v36, v[2:3], v[34:35] offset1:20
	ds_store_2addr_b64 v37, v[13:14], v[15:16] offset1:20
	;; [unrolled: 1-line block ×3, first 2 shown]
	v_and_b32_e32 v10, 1, v103
	s_wait_loadcnt 0x4
	v_dual_sub_f32 v19, v25, v19 :: v_dual_sub_f32 v20, v26, v20
	s_wait_loadcnt 0x2
	v_dual_sub_f32 v27, v21, v27 :: v_dual_sub_f32 v28, v22, v28
	;; [unrolled: 2-line block ×3, first 2 shown]
	v_fma_f32 v29, v29, 2.0, -v31
	v_fma_f32 v30, v30, 2.0, -v32
	v_add3_u32 v11, 0, v5, v1
	v_mul_u32_u24_e32 v5, 3, v10
	v_fma_f32 v25, v25, 2.0, -v19
	v_fma_f32 v26, v26, 2.0, -v20
	v_add_nc_u32_e32 v2, 0x3800, v4
	v_fma_f32 v21, v21, 2.0, -v27
	v_fma_f32 v22, v22, 2.0, -v28
	v_add_nc_u32_e32 v3, 0x4800, v4
	;; [unrolled: 3-line block ×3, first 2 shown]
	ds_store_2addr_b64 v11, v[29:30], v[31:32] offset1:20
	ds_store_2addr_b64 v2, v[25:26], v[19:20] offset0:208 offset1:228
	ds_store_2addr_b64 v3, v[21:22], v[27:28] offset0:96 offset1:116
	;; [unrolled: 1-line block ×3, first 2 shown]
	v_lshlrev_b32_e32 v2, 3, v5
	global_wb scope:SCOPE_SE
	s_wait_dscnt 0x0
	s_barrier_signal -1
	s_barrier_wait -1
	global_inv scope:SCOPE_SE
	s_clause 0x1
	global_load_b128 v[6:9], v2, s[14:15]
	global_load_b64 v[22:23], v2, s[14:15] offset:16
	v_mad_i32_i24 v55, 0xffffff60, v33, v11
	v_mul_u32_u24_e32 v2, 0xa0, v103
	v_mul_i32_i24_e32 v3, 0xa0, v107
	v_mul_i32_i24_e32 v12, 0xa0, v105
	v_lshlrev_b32_e32 v26, 2, v103
	ds_load_b64 v[35:36], v55
	v_lshlrev_b32_e32 v109, 2, v107
	v_lshlrev_b32_e32 v108, 2, v106
	;; [unrolled: 1-line block ×3, first 2 shown]
	v_and_b32_e32 v24, 7, v103
	v_add3_u32 v2, 0, v2, v1
	v_mul_i32_i24_e32 v5, 0xa0, v106
	v_add3_u32 v4, 0, v3, v1
	v_add3_u32 v3, 0, v12, v1
	v_and_or_b32 v12, v26, 56, v10
	v_and_or_b32 v14, 0x7ff8, v108, v10
	v_mul_u32_u24_e32 v15, 3, v24
	v_add_nc_u32_e32 v11, 0x3200, v2
	v_add_nc_u32_e32 v56, 0x4a00, v2
	;; [unrolled: 1-line block ×4, first 2 shown]
	v_add3_u32 v5, 0, v5, v1
	v_add_nc_u32_e32 v63, 0x3e00, v2
	v_add_nc_u32_e32 v64, 0x5600, v2
	v_mul_u32_u24_e32 v49, 0xa0, v12
	v_mul_u32_u24_e32 v51, 0xa0, v14
	v_lshlrev_b32_e32 v57, 3, v15
	v_cmp_gt_u32_e64 s2, 40, v0
	s_mov_b32 s16, 0
	s_wait_loadcnt_dscnt 0x100
	v_mul_f32_e32 v58, v7, v36
	v_and_or_b32 v13, 0x7ff8, v109, v10
	v_and_or_b32 v10, 0x7ff8, v25, v10
	v_mul_f32_e32 v59, v7, v35
	s_delay_alu instid0(VALU_DEP_3) | instskip(NEXT) | instid1(VALU_DEP_3)
	v_mul_u32_u24_e32 v50, 0xa0, v13
	v_mul_u32_u24_e32 v52, 0xa0, v10
	ds_load_2addr_b64 v[10:13], v11 offset1:200
	ds_load_b64 v[37:38], v2
	ds_load_2addr_b64 v[14:17], v56 offset0:32 offset1:232
	ds_load_b64 v[39:40], v4
	ds_load_2addr_b32 v[41:42], v18 offset0:208 offset1:209
	ds_load_b64 v[43:44], v5
	ds_load_2addr_b64 v[18:21], v19 offset0:48 offset1:248
	ds_load_2addr_b64 v[27:30], v63 offset0:16 offset1:216
	;; [unrolled: 1-line block ×3, first 2 shown]
	ds_load_b64 v[45:46], v3
	v_and_b32_e32 v53, 7, v107
	v_and_b32_e32 v54, 7, v106
	global_wb scope:SCOPE_SE
	s_wait_loadcnt_dscnt 0x0
	s_barrier_signal -1
	s_barrier_wait -1
	global_inv scope:SCOPE_SE
	v_mul_f32_e32 v70, v13, v9
	v_mul_f32_e32 v60, v9, v11
	v_dual_mul_f32 v62, v23, v15 :: v_dual_mul_f32 v61, v9, v10
	v_mul_f32_e32 v69, v7, v41
	v_mul_f32_e32 v67, v23, v14
	v_mul_f32_e32 v75, v18, v7
	v_mul_f32_e32 v81, v30, v9
	v_dual_mul_f32 v68, v42, v7 :: v_dual_mul_f32 v71, v12, v9
	v_mul_f32_e32 v72, v17, v23
	v_mul_f32_e32 v73, v16, v23
	;; [unrolled: 5-line block ×3, first 2 shown]
	v_dual_mul_f32 v82, v34, v23 :: v_dual_fmac_f32 v81, v29, v8
	v_dual_mul_f32 v23, v33, v23 :: v_dual_fmac_f32 v62, v22, v14
	v_fma_f32 v14, v42, v6, -v69
	v_fmac_f32_e32 v70, v12, v8
	v_mul_f32_e32 v80, v21, v7
	v_mul_f32_e32 v7, v20, v7
	v_fmac_f32_e32 v60, v8, v10
	v_fmac_f32_e32 v58, v6, v35
	v_fma_f32 v35, v6, v36, -v59
	v_fma_f32 v10, v8, v11, -v61
	;; [unrolled: 1-line block ×3, first 2 shown]
	v_fmac_f32_e32 v68, v6, v41
	v_fma_f32 v12, v13, v8, -v71
	v_fma_f32 v13, v17, v22, -v73
	;; [unrolled: 1-line block ×3, first 2 shown]
	v_fmac_f32_e32 v76, v27, v8
	v_fma_f32 v17, v32, v22, -v79
	v_fmac_f32_e32 v74, v18, v6
	v_fma_f32 v18, v21, v6, -v7
	v_fma_f32 v7, v34, v22, -v23
	v_fmac_f32_e32 v78, v31, v22
	v_sub_f32_e32 v21, v39, v70
	v_fmac_f32_e32 v80, v20, v6
	v_fma_f32 v6, v30, v8, -v9
	v_dual_sub_f32 v31, v45, v81 :: v_dual_fmac_f32 v72, v16, v22
	v_sub_f32_e32 v27, v43, v76
	v_fma_f32 v16, v28, v8, -v77
	v_sub_f32_e32 v19, v37, v60
	v_sub_f32_e32 v9, v35, v11
	;; [unrolled: 1-line block ×3, first 2 shown]
	s_delay_alu instid0(VALU_DEP_4)
	v_dual_sub_f32 v13, v15, v17 :: v_dual_sub_f32 v28, v44, v16
	v_sub_f32_e32 v32, v46, v6
	v_sub_f32_e32 v8, v58, v62
	;; [unrolled: 1-line block ×3, first 2 shown]
	v_fmac_f32_e32 v82, v33, v22
	v_fma_f32 v33, v37, 2.0, -v19
	v_fma_f32 v29, v35, 2.0, -v9
	;; [unrolled: 1-line block ×6, first 2 shown]
	v_sub_f32_e32 v22, v40, v12
	v_dual_sub_f32 v10, v68, v72 :: v_dual_sub_f32 v17, v18, v7
	v_fma_f32 v37, v14, 2.0, -v11
	v_dual_sub_f32 v14, v33, v23 :: v_dual_add_nc_u32 v73, 0x4200, v2
	v_sub_f32_e32 v23, v39, v41
	v_fma_f32 v36, v40, 2.0, -v22
	v_sub_f32_e32 v12, v74, v78
	v_dual_add_f32 v6, v19, v9 :: v_dual_sub_f32 v7, v20, v8
	v_dual_add_f32 v8, v21, v11 :: v_dual_sub_f32 v9, v22, v10
	s_delay_alu instid0(VALU_DEP_3)
	v_sub_f32_e32 v11, v28, v12
	v_fma_f32 v34, v38, 2.0, -v20
	v_fma_f32 v42, v45, 2.0, -v31
	v_fma_f32 v30, v68, 2.0, -v10
	v_fma_f32 v38, v43, 2.0, -v27
	v_dual_add_f32 v10, v27, v13 :: v_dual_add_nc_u32 v69, 0x2800, v2
	v_dual_sub_f32 v15, v34, v29 :: v_dual_sub_f32 v16, v80, v82
	v_fma_f32 v43, v46, 2.0, -v32
	v_fma_f32 v45, v18, 2.0, -v17
	v_sub_f32_e32 v18, v35, v30
	v_add3_u32 v49, 0, v49, v1
	v_fma_f32 v44, v80, 2.0, -v16
	v_fma_f32 v33, v33, 2.0, -v14
	v_sub_f32_e32 v30, v43, v45
	v_fma_f32 v34, v34, 2.0, -v15
	v_add3_u32 v50, 0, v50, v1
	v_sub_f32_e32 v29, v42, v44
	v_sub_f32_e32 v13, v32, v16
	v_fma_f32 v16, v19, 2.0, -v6
	v_sub_f32_e32 v19, v36, v37
	v_fma_f32 v40, v74, 2.0, -v12
	v_dual_add_f32 v12, v31, v17 :: v_dual_add_nc_u32 v71, 0x5000, v2
	v_fma_f32 v17, v20, 2.0, -v7
	v_fma_f32 v20, v21, 2.0, -v8
	;; [unrolled: 1-line block ×3, first 2 shown]
	v_sub_f32_e32 v22, v38, v40
	v_fma_f32 v35, v35, 2.0, -v18
	v_fma_f32 v36, v36, 2.0, -v19
	v_add3_u32 v51, 0, v51, v1
	v_fma_f32 v27, v27, 2.0, -v10
	v_fma_f32 v28, v28, 2.0, -v11
	;; [unrolled: 1-line block ×4, first 2 shown]
	v_add3_u32 v52, 0, v52, v1
	v_fma_f32 v31, v31, 2.0, -v12
	v_fma_f32 v32, v32, 2.0, -v13
	v_fma_f32 v39, v42, 2.0, -v29
	v_fma_f32 v40, v43, 2.0, -v30
	ds_store_2addr_b64 v49, v[14:15], v[6:7] offset0:80 offset1:120
	ds_store_2addr_b64 v49, v[33:34], v[16:17] offset1:40
	ds_store_2addr_b64 v50, v[35:36], v[20:21] offset1:40
	ds_store_2addr_b64 v50, v[18:19], v[8:9] offset0:80 offset1:120
	ds_store_2addr_b64 v51, v[37:38], v[27:28] offset1:40
	ds_store_2addr_b64 v51, v[22:23], v[10:11] offset0:80 offset1:120
	ds_store_2addr_b64 v52, v[39:40], v[31:32] offset1:40
	ds_store_2addr_b64 v52, v[29:30], v[12:13] offset0:80 offset1:120
	global_wb scope:SCOPE_SE
	s_wait_dscnt 0x0
	s_barrier_signal -1
	s_barrier_wait -1
	global_inv scope:SCOPE_SE
	s_clause 0x1
	global_load_b128 v[6:9], v57, s[14:15] offset:48
	global_load_b64 v[22:23], v57, s[14:15] offset:64
	v_mul_u32_u24_e32 v47, 3, v53
	v_and_b32_e32 v27, 7, v105
	v_mul_u32_u24_e32 v48, 3, v54
	v_and_or_b32 v24, v26, 32, v24
	v_and_or_b32 v29, 0x7fe0, v108, v54
	v_lshlrev_b32_e32 v14, 3, v47
	v_mul_u32_u24_e32 v19, 3, v27
	v_lshlrev_b32_e32 v18, 3, v48
	s_clause 0x1
	global_load_b128 v[10:13], v14, s[14:15] offset:48
	global_load_b64 v[47:48], v14, s[14:15] offset:64
	v_lshlrev_b32_e32 v28, 3, v19
	s_clause 0x3
	global_load_b128 v[14:17], v18, s[14:15] offset:48
	global_load_b64 v[49:50], v18, s[14:15] offset:64
	global_load_b128 v[18:21], v28, s[14:15] offset:48
	global_load_b64 v[51:52], v28, s[14:15] offset:64
	ds_load_2addr_b64 v[31:34], v56 offset0:32 offset1:232
	v_and_or_b32 v28, 0x7fe0, v109, v53
	v_and_or_b32 v27, 0x7fe0, v25, v27
	v_add_nc_u32_e32 v30, 0x2b00, v2
	v_mul_u32_u24_e32 v24, 0xa0, v24
	v_mul_u32_u24_e32 v29, 0xa0, v29
	;; [unrolled: 1-line block ×4, first 2 shown]
	v_add_nc_u32_e32 v35, 0x1e00, v2
	v_add3_u32 v24, 0, v24, v1
	v_add3_u32 v75, 0, v29, v1
	;; [unrolled: 1-line block ×3, first 2 shown]
	ds_load_b64 v[53:54], v55
	v_add3_u32 v1, 0, v27, v1
	v_add_nc_u32_e32 v39, 0x3800, v2
	ds_load_2addr_b64 v[35:38], v35 offset0:40 offset1:240
	v_add_nc_u32_e32 v70, 0x3480, v2
	v_add_nc_u32_e32 v77, 0x800, v74
	;; [unrolled: 1-line block ×3, first 2 shown]
	s_wait_loadcnt_dscnt 0x701
	v_mul_f32_e32 v67, v7, v54
	s_wait_loadcnt 0x6
	v_mul_f32_e32 v80, v23, v32
	v_mul_f32_e32 v23, v23, v31
	ds_load_2addr_b64 v[27:30], v30 offset0:24 offset1:224
	ds_load_b64 v[55:56], v2
	ds_load_2addr_b32 v[57:58], v39 offset0:16 offset1:17
	ds_load_b64 v[59:60], v4
	ds_load_b64 v[61:62], v5
	ds_load_2addr_b64 v[39:42], v63 offset0:16 offset1:216
	ds_load_2addr_b64 v[43:46], v64 offset0:48 offset1:248
	ds_load_b64 v[63:64], v3
	v_dual_mul_f32 v7, v7, v53 :: v_dual_add_nc_u32 v72, 0x1a00, v2
	v_add_nc_u32_e32 v76, 0x800, v24
	v_dual_fmac_f32 v67, v6, v53 :: v_dual_add_nc_u32 v78, 0x800, v75
	s_delay_alu instid0(VALU_DEP_3)
	v_fma_f32 v6, v6, v54, -v7
	s_wait_loadcnt_dscnt 0x508
	v_mul_f32_e32 v81, v11, v36
	s_wait_loadcnt 0x4
	v_mul_f32_e32 v82, v34, v48
	v_dual_mul_f32 v48, v33, v48 :: v_dual_mul_f32 v11, v11, v35
	s_wait_loadcnt 0x3
	v_mul_f32_e32 v84, v38, v15
	v_mul_f32_e32 v15, v37, v15
	v_fmac_f32_e32 v81, v10, v35
	global_wb scope:SCOPE_SE
	s_wait_loadcnt_dscnt 0x0
	v_mul_f32_e32 v83, v58, v13
	v_mul_f32_e32 v13, v13, v57
	s_barrier_signal -1
	v_dual_mul_f32 v85, v40, v17 :: v_dual_mul_f32 v68, v9, v30
	v_mul_f32_e32 v17, v39, v17
	v_mul_f32_e32 v9, v9, v29
	;; [unrolled: 1-line block ×3, first 2 shown]
	v_dual_mul_f32 v86, v44, v50 :: v_dual_mul_f32 v89, v46, v52
	v_dual_mul_f32 v50, v43, v50 :: v_dual_fmac_f32 v83, v12, v57
	s_delay_alu instid0(VALU_DEP_3)
	v_dual_fmac_f32 v80, v22, v31 :: v_dual_fmac_f32 v87, v27, v18
	v_fma_f32 v7, v8, v30, -v9
	v_dual_mul_f32 v19, v27, v19 :: v_dual_mul_f32 v88, v42, v21
	v_fmac_f32_e32 v85, v39, v16
	v_mul_f32_e32 v21, v41, v21
	v_mul_f32_e32 v52, v45, v52
	v_fma_f32 v22, v22, v32, -v23
	v_dual_fmac_f32 v68, v8, v29 :: v_dual_fmac_f32 v89, v45, v51
	v_fmac_f32_e32 v82, v33, v47
	v_fma_f32 v23, v34, v47, -v48
	v_fma_f32 v8, v58, v12, -v13
	;; [unrolled: 1-line block ×3, first 2 shown]
	v_fmac_f32_e32 v84, v37, v14
	v_fma_f32 v10, v38, v14, -v15
	v_fma_f32 v11, v40, v16, -v17
	v_sub_f32_e32 v17, v56, v7
	v_fma_f32 v12, v44, v49, -v50
	v_sub_f32_e32 v7, v67, v80
	v_fmac_f32_e32 v86, v43, v49
	v_fma_f32 v13, v28, v18, -v19
	v_dual_fmac_f32 v88, v41, v20 :: v_dual_sub_f32 v19, v59, v83
	v_fma_f32 v14, v42, v20, -v21
	v_fma_f32 v15, v46, v51, -v52
	s_delay_alu instid0(VALU_DEP_3) | instskip(SKIP_1) | instid1(VALU_DEP_3)
	v_dual_sub_f32 v18, v6, v22 :: v_dual_sub_f32 v29, v63, v88
	v_sub_f32_e32 v16, v55, v68
	v_dual_sub_f32 v20, v60, v8 :: v_dual_sub_f32 v15, v13, v15
	v_sub_f32_e32 v21, v81, v82
	v_sub_f32_e32 v8, v9, v23
	;; [unrolled: 1-line block ×3, first 2 shown]
	v_dual_sub_f32 v11, v84, v86 :: v_dual_sub_f32 v22, v61, v85
	v_sub_f32_e32 v12, v10, v12
	v_sub_f32_e32 v30, v64, v14
	v_fma_f32 v32, v56, 2.0, -v17
	v_fma_f32 v28, v6, 2.0, -v18
	v_sub_f32_e32 v14, v87, v89
	v_fma_f32 v31, v55, 2.0, -v16
	v_fma_f32 v27, v67, 2.0, -v7
	;; [unrolled: 3-line block ×3, first 2 shown]
	v_fma_f32 v35, v9, 2.0, -v8
	v_add_f32_e32 v6, v16, v18
	v_fma_f32 v18, v81, 2.0, -v21
	v_dual_add_f32 v8, v19, v8 :: v_dual_sub_f32 v9, v20, v21
	v_fma_f32 v37, v62, 2.0, -v23
	v_fma_f32 v21, v84, 2.0, -v11
	;; [unrolled: 1-line block ×3, first 2 shown]
	v_sub_f32_e32 v11, v23, v11
	v_fma_f32 v36, v61, 2.0, -v22
	v_fma_f32 v39, v63, 2.0, -v29
	;; [unrolled: 1-line block ×3, first 2 shown]
	v_add_f32_e32 v67, v29, v15
	v_fma_f32 v40, v64, 2.0, -v30
	v_sub_f32_e32 v13, v32, v28
	v_fma_f32 v41, v87, 2.0, -v14
	v_add_f32_e32 v10, v22, v12
	v_sub_f32_e32 v12, v31, v27
	v_sub_f32_e32 v68, v30, v14
	v_fma_f32 v15, v17, 2.0, -v7
	v_sub_f32_e32 v27, v39, v41
	v_sub_f32_e32 v17, v34, v35
	v_fma_f32 v14, v16, 2.0, -v6
	v_sub_f32_e32 v16, v33, v18
	v_fma_f32 v18, v19, 2.0, -v8
	v_fma_f32 v19, v20, 2.0, -v9
	v_dual_sub_f32 v20, v36, v21 :: v_dual_sub_f32 v21, v37, v38
	v_sub_f32_e32 v28, v40, v42
	v_fma_f32 v31, v31, 2.0, -v12
	v_fma_f32 v32, v32, 2.0, -v13
	;; [unrolled: 1-line block ×10, first 2 shown]
	s_barrier_wait -1
	global_inv scope:SCOPE_SE
	v_fma_f32 v37, v39, 2.0, -v27
	v_fma_f32 v38, v40, 2.0, -v28
	ds_store_2addr_b64 v76, v[12:13], v[6:7] offset0:64 offset1:224
	ds_store_2addr_b64 v24, v[31:32], v[14:15] offset1:160
	ds_store_2addr_b64 v74, v[33:34], v[18:19] offset1:160
	ds_store_2addr_b64 v77, v[16:17], v[8:9] offset0:64 offset1:224
	ds_store_2addr_b64 v75, v[35:36], v[22:23] offset1:160
	ds_store_2addr_b64 v78, v[20:21], v[10:11] offset0:64 offset1:224
	;; [unrolled: 2-line block ×3, first 2 shown]
	global_wb scope:SCOPE_SE
	s_wait_dscnt 0x0
	s_barrier_signal -1
	s_barrier_wait -1
	global_inv scope:SCOPE_SE
	ds_load_2addr_stride64_b64 v[9:12], v2 offset1:10
	ds_load_2addr_b64 v[33:36], v69 offset1:200
	ds_load_2addr_b64 v[21:24], v70 offset1:240
	;; [unrolled: 1-line block ×3, first 2 shown]
	ds_load_2addr_b64 v[29:32], v72 offset0:8 offset1:208
	ds_load_2addr_b64 v[13:16], v73 offset0:8 offset1:208
	ds_load_b64 v[69:70], v5
	ds_load_b64 v[71:72], v4
	ds_load_b64 v[73:74], v2 offset:23680
                                        ; kill: def $vgpr1 killed $sgpr0 killed $exec
                                        ; implicit-def: $vgpr4
                                        ; implicit-def: $vgpr8
	s_and_saveexec_b32 s17, s2
	s_cbranch_execz .LBB0_16
; %bb.15:
	v_add_nc_u32_e32 v1, 0xc0, v2
	ds_load_b64 v[67:68], v3
	ds_load_2addr_stride64_b64 v[5:8], v1 offset0:19 offset1:29
	ds_load_2addr_stride64_b64 v[1:4], v1 offset0:39 offset1:49
.LBB0_16:
	s_wait_alu 0xfffe
	s_or_b32 exec_lo, exec_lo, s17
	v_and_b32_e32 v26, 60, v26
	v_or_b32_e32 v37, 64, v103
	s_load_b64 s[0:1], s[0:1], 0x8
	v_or_b32_e32 v38, 0x60, v103
	s_and_not1_b32 vcc_lo, exec_lo, s3
	v_lshlrev_b32_e32 v26, 3, v26
	v_mul_lo_u32 v37, v65, v37
	s_delay_alu instid0(VALU_DEP_3) | instskip(SKIP_2) | instid1(VALU_DEP_1)
	v_mul_lo_u32 v38, v65, v38
	global_load_b128 v[53:56], v26, s[14:15] offset:240
	v_and_b32_e32 v27, 0x7c, v109
	v_lshlrev_b32_e32 v27, 3, v27
	global_load_b128 v[57:60], v27, s[14:15] offset:240
	v_and_b32_e32 v28, 0x7c, v108
	v_and_b32_e32 v79, 0xff, v37
	v_lshrrev_b32_e32 v37, 5, v37
	s_delay_alu instid0(VALU_DEP_3) | instskip(SKIP_3) | instid1(VALU_DEP_2)
	v_lshlrev_b32_e32 v28, 3, v28
	s_wait_loadcnt_dscnt 0x107
	v_dual_mul_f32 v125, v54, v12 :: v_dual_mul_f32 v126, v56, v34
	v_mul_f32_e32 v54, v54, v11
	v_dual_mul_f32 v56, v56, v33 :: v_dual_fmac_f32 v125, v53, v11
	s_clause 0x2
	global_load_b128 v[49:52], v28, s[14:15] offset:240
	global_load_b128 v[45:48], v26, s[14:15] offset:256
	;; [unrolled: 1-line block ×3, first 2 shown]
	v_lshlrev_b32_e32 v79, 3, v79
	v_and_b32_e32 v25, 0x7c, v25
	v_mul_lo_u32 v26, v65, v103
	v_fma_f32 v11, v53, v12, -v54
	v_fma_f32 v12, v55, v34, -v56
	v_fmac_f32_e32 v126, v55, v33
	v_and_b32_e32 v118, 31, v105
	v_and_b32_e32 v27, 0xff, v26
	v_lshrrev_b32_e32 v26, 5, v26
	s_wait_loadcnt_dscnt 0x204
	s_delay_alu instid0(VALU_DEP_2) | instskip(SKIP_1) | instid1(VALU_DEP_2)
	v_dual_mul_f32 v128, v32, v50 :: v_dual_lshlrev_b32 v27, 3, v27
	v_mul_f32_e32 v50, v31, v50
	v_fmac_f32_e32 v128, v31, v49
	s_delay_alu instid0(VALU_DEP_2)
	v_fma_f32 v31, v32, v49, -v50
	s_wait_loadcnt 0x0
	v_mul_f32_e32 v49, v44, v19
	global_load_b128 v[61:64], v28, s[14:15] offset:256
	v_or_b32_e32 v28, 32, v103
	v_mul_f32_e32 v32, v46, v24
	v_mul_f32_e32 v46, v46, v23
	v_and_b32_e32 v26, 0x7f8, v26
	s_delay_alu instid0(VALU_DEP_4) | instskip(NEXT) | instid1(VALU_DEP_4)
	v_mul_lo_u32 v28, v65, v28
	v_fmac_f32_e32 v32, v45, v23
	s_delay_alu instid0(VALU_DEP_4) | instskip(SKIP_4) | instid1(VALU_DEP_4)
	v_fma_f32 v23, v45, v24, -v46
	v_mul_f32_e32 v24, v44, v20
	v_and_b32_e32 v80, 0xff, v38
	v_and_b32_e32 v39, 0xff, v28
	v_lshrrev_b32_e32 v28, 5, v28
	v_fmac_f32_e32 v24, v43, v19
	v_fma_f32 v19, v43, v20, -v49
	s_delay_alu instid0(VALU_DEP_4) | instskip(NEXT) | instid1(VALU_DEP_4)
	v_lshlrev_b32_e32 v39, 3, v39
	v_and_b32_e32 v28, 0x7f8, v28
	s_wait_loadcnt_dscnt 0x0
	v_mul_f32_e32 v49, v73, v64
	s_wait_kmcnt 0x0
	s_clause 0x3
	global_load_b64 v[75:76], v27, s[0:1]
	global_load_b64 v[77:78], v26, s[0:1] offset:2048
	global_load_b64 v[81:82], v39, s[0:1]
	global_load_b64 v[83:84], v28, s[0:1] offset:2048
	v_and_b32_e32 v28, 0x7f8, v37
	s_clause 0x1
	global_load_b64 v[85:86], v79, s[0:1]
	global_load_b64 v[87:88], v28, s[0:1] offset:2048
	v_lshrrev_b32_e32 v37, 5, v38
	v_lshlrev_b32_e32 v39, 3, v80
	v_or_b32_e32 v27, 0x80, v103
	v_dual_mul_f32 v43, v15, v62 :: v_dual_and_b32 v26, 31, v107
	s_delay_alu instid0(VALU_DEP_4)
	v_and_b32_e32 v28, 0x7f8, v37
	s_clause 0x1
	global_load_b64 v[93:94], v39, s[0:1]
	global_load_b64 v[95:96], v28, s[0:1] offset:2048
	v_mul_lo_u32 v27, v65, v27
	v_mul_lo_u32 v40, v65, v26
	v_dual_mul_f32 v20, v16, v62 :: v_dual_lshlrev_b32 v39, 3, v25
	s_delay_alu instid0(VALU_DEP_3) | instskip(SKIP_1) | instid1(VALU_DEP_4)
	v_and_b32_e32 v38, 0xff, v27
	v_lshrrev_b32_e32 v27, 5, v27
	v_and_b32_e32 v37, 0xff, v40
	v_lshrrev_b32_e32 v28, 5, v40
	v_fmac_f32_e32 v20, v15, v61
	v_lshlrev_b32_e32 v38, 3, v38
	v_and_b32_e32 v27, 0x7f8, v27
	v_lshlrev_b32_e32 v37, 3, v37
	s_clause 0x1
	global_load_b64 v[91:92], v38, s[0:1]
	global_load_b64 v[99:100], v27, s[0:1] offset:2048
	v_and_b32_e32 v27, 0x7f8, v28
	s_clause 0x1
	global_load_b64 v[97:98], v37, s[0:1]
	global_load_b64 v[101:102], v27, s[0:1] offset:2048
	v_or_b32_e32 v27, 32, v26
	v_or_b32_e32 v37, 0x60, v26
	v_fma_f32 v15, v74, v63, -v49
	s_delay_alu instid0(VALU_DEP_3) | instskip(NEXT) | instid1(VALU_DEP_3)
	v_mul_lo_u32 v27, v65, v27
	v_mul_lo_u32 v115, v65, v37
	s_delay_alu instid0(VALU_DEP_2) | instskip(SKIP_1) | instid1(VALU_DEP_3)
	v_and_b32_e32 v28, 0xff, v27
	v_lshrrev_b32_e32 v27, 5, v27
	v_and_b32_e32 v121, 0xff, v115
	v_lshrrev_b32_e32 v115, 5, v115
	s_delay_alu instid0(VALU_DEP_4) | instskip(NEXT) | instid1(VALU_DEP_4)
	v_lshlrev_b32_e32 v28, 3, v28
	v_and_b32_e32 v27, 0x7f8, v27
	s_clause 0x1
	global_load_b64 v[79:80], v28, s[0:1]
	global_load_b64 v[89:90], v27, s[0:1] offset:2048
	v_and_b32_e32 v27, 31, v106
	v_or_b32_e32 v28, 64, v26
	v_lshlrev_b32_e32 v56, 3, v121
	v_or_b32_e32 v26, 0x80, v26
	s_delay_alu instid0(VALU_DEP_4) | instskip(NEXT) | instid1(VALU_DEP_4)
	v_or_b32_e32 v111, 64, v27
	v_mul_lo_u32 v114, v65, v28
	s_delay_alu instid0(VALU_DEP_3) | instskip(NEXT) | instid1(VALU_DEP_3)
	v_mul_lo_u32 v116, v65, v26
	v_mul_lo_u32 v111, v65, v111
	s_delay_alu instid0(VALU_DEP_3) | instskip(SKIP_1) | instid1(VALU_DEP_3)
	v_and_b32_e32 v120, 0xff, v114
	v_lshrrev_b32_e32 v114, 5, v114
	v_and_b32_e32 v33, 0xff, v111
	s_delay_alu instid0(VALU_DEP_3) | instskip(SKIP_1) | instid1(VALU_DEP_4)
	v_lshlrev_b32_e32 v54, 3, v120
	v_mul_f32_e32 v120, v60, v36
	v_dual_mul_f32 v60, v60, v35 :: v_dual_and_b32 v55, 0x7f8, v114
	s_delay_alu instid0(VALU_DEP_4) | instskip(NEXT) | instid1(VALU_DEP_3)
	v_lshlrev_b32_e32 v121, 3, v33
	v_dual_mul_f32 v33, v58, v29 :: v_dual_fmac_f32 v120, v59, v35
	s_delay_alu instid0(VALU_DEP_3) | instskip(SKIP_2) | instid1(VALU_DEP_2)
	v_fma_f32 v59, v59, v36, -v60
	v_mul_f32_e32 v60, v58, v30
	v_lshrrev_b32_e32 v34, 5, v111
	v_dual_fmac_f32 v60, v57, v29 :: v_dual_and_b32 v111, 0x7f8, v115
	v_fma_f32 v29, v57, v30, -v33
	v_mul_f32_e32 v30, v22, v52
	v_mul_f32_e32 v52, v21, v52
	v_sub_f32_e32 v57, v125, v126
	s_delay_alu instid0(VALU_DEP_3) | instskip(NEXT) | instid1(VALU_DEP_3)
	v_fmac_f32_e32 v30, v21, v51
	v_fma_f32 v21, v22, v51, -v52
	v_mul_f32_e32 v22, v48, v18
	v_mul_f32_e32 v48, v48, v17
	v_mul_lo_u32 v110, v65, v27
	v_or_b32_e32 v113, 0x80, v27
	v_or_b32_e32 v112, 0x60, v27
	;; [unrolled: 1-line block ×3, first 2 shown]
	v_fmac_f32_e32 v22, v47, v17
	v_fma_f32 v17, v47, v18, -v48
	v_mul_lo_u32 v119, v65, v113
	v_mul_lo_u32 v112, v65, v112
	v_and_b32_e32 v113, 0xff, v110
	v_mul_f32_e32 v18, v42, v14
	v_mul_f32_e32 v42, v42, v13
	v_mul_lo_u32 v117, v65, v38
	v_lshrrev_b32_e32 v110, 5, v110
	v_lshlrev_b32_e32 v123, 3, v113
	v_dual_fmac_f32 v18, v41, v13 :: v_dual_and_b32 v53, 0xff, v112
	v_fma_f32 v13, v41, v14, -v42
	v_fma_f32 v14, v16, v61, -v43
	v_and_b32_e32 v122, 0xff, v116
	v_and_b32_e32 v124, 0x7f8, v110
	;; [unrolled: 1-line block ×3, first 2 shown]
	s_clause 0x1
	global_load_b128 v[25:28], v39, s[14:15] offset:256
	global_load_b128 v[37:40], v39, s[14:15] offset:240
	v_lshrrev_b32_e32 v127, 5, v112
	v_lshlrev_b32_e32 v112, 3, v122
	v_and_b32_e32 v122, 0x7f8, v34
	v_lshrrev_b32_e32 v116, 5, v116
	v_lshrrev_b32_e32 v113, 5, v117
	v_lshlrev_b32_e32 v58, 3, v53
	v_mul_f32_e32 v48, v74, v64
	v_dual_add_f32 v16, v9, v125 :: v_dual_add_f32 v43, v12, v23
	v_dual_add_f32 v42, v125, v22 :: v_dual_add_f32 v49, v11, v17
	v_sub_f32_e32 v62, v126, v125
	s_delay_alu instid0(VALU_DEP_4) | instskip(SKIP_1) | instid1(VALU_DEP_4)
	v_fmac_f32_e32 v48, v73, v63
	v_sub_f32_e32 v73, v17, v23
	v_fma_f32 v74, -0.5, v42, v9
	v_sub_f32_e32 v42, v60, v120
	s_wait_loadcnt 0xe
	v_mul_f32_e32 v51, v76, v78
	v_mul_f32_e32 v52, v75, v78
	s_delay_alu instid0(VALU_DEP_2) | instskip(SKIP_1) | instid1(VALU_DEP_2)
	v_fma_f32 v75, v75, v77, -v51
	s_wait_loadcnt 0xa
	v_dual_fmac_f32 v52, v76, v77 :: v_dual_mul_f32 v77, v86, v88
	v_dual_mul_f32 v88, v85, v88 :: v_dual_lshlrev_b32 v115, 3, v110
	v_sub_f32_e32 v51, v120, v60
	v_mul_f32_e32 v76, v81, v84
	s_delay_alu instid0(VALU_DEP_4)
	v_fma_f32 v130, v85, v87, -v77
	v_add_f32_e32 v77, v59, v13
	s_clause 0x1
	global_load_b64 v[33:34], v54, s[0:1]
	global_load_b64 v[35:36], v55, s[0:1] offset:2048
	s_wait_loadcnt 0xa
	v_dual_fmac_f32 v88, v86, v87 :: v_dual_mul_f32 v87, v93, v96
	v_and_b32_e32 v114, 0x7f8, v116
	v_and_b32_e32 v116, 0x7f8, v113
	v_sub_f32_e32 v86, v13, v19
	v_fmac_f32_e32 v76, v82, v83
	v_fmac_f32_e32 v87, v94, v95
	s_clause 0x7
	global_load_b64 v[53:54], v56, s[0:1]
	global_load_b64 v[55:56], v111, s[0:1] offset:2048
	global_load_b64 v[110:111], v112, s[0:1]
	global_load_b64 v[112:113], v114, s[0:1] offset:2048
	;; [unrolled: 2-line block ×4, first 2 shown]
	v_fma_f32 v123, -0.5, v43, v10
	v_mul_f32_e32 v43, v82, v84
	v_fma_f32 v124, -0.5, v49, v10
	v_sub_f32_e32 v82, v29, v59
	v_add_f32_e32 v84, v29, v19
	s_delay_alu instid0(VALU_DEP_4) | instskip(SKIP_4) | instid1(VALU_DEP_3)
	v_fma_f32 v129, v81, v83, -v43
	v_mul_f32_e32 v81, v94, v96
	s_wait_loadcnt 0x10
	v_mul_f32_e32 v94, v91, v100
	v_mul_f32_e32 v83, v92, v100
	v_fma_f32 v93, v93, v95, -v81
	v_fma_f32 v100, -0.5, v77, v72
	v_sub_f32_e32 v77, v12, v23
	s_wait_loadcnt 0xe
	v_mul_f32_e32 v85, v98, v102
	v_fma_f32 v91, v91, v99, -v83
	v_sub_f32_e32 v83, v59, v29
	v_dual_sub_f32 v81, v19, v13 :: v_dual_add_f32 v16, v16, v126
	s_delay_alu instid0(VALU_DEP_4)
	v_fma_f32 v96, v97, v101, -v85
	v_sub_f32_e32 v85, v48, v20
	v_fmac_f32_e32 v94, v92, v99
	v_mul_f32_e32 v92, v97, v102
	v_sub_f32_e32 v95, v128, v30
	v_add_f32_e32 v41, v126, v32
	v_sub_f32_e32 v97, v30, v128
	v_sub_f32_e32 v43, v18, v24
	;; [unrolled: 1-line block ×3, first 2 shown]
	v_add_f32_e32 v50, v10, v11
	v_fma_f32 v41, -0.5, v41, v9
	v_dual_sub_f32 v9, v12, v11 :: v_dual_sub_f32 v10, v23, v17
	v_sub_f32_e32 v49, v24, v18
	v_add_f32_e32 v43, v51, v43
	v_dual_add_f32 v51, v70, v31 :: v_dual_sub_f32 v64, v11, v12
	s_delay_alu instid0(VALU_DEP_4)
	v_add_f32_e32 v9, v9, v10
	v_sub_f32_e32 v63, v32, v22
	v_add_f32_e32 v99, v21, v14
	v_add_f32_e32 v57, v57, v61
	v_sub_f32_e32 v61, v31, v21
	v_dual_add_f32 v64, v64, v73 :: v_dual_add_f32 v73, v31, v15
	v_sub_f32_e32 v10, v21, v31
	v_dual_add_f32 v42, v42, v49 :: v_dual_sub_f32 v31, v31, v15
	v_sub_f32_e32 v49, v14, v15
	v_fmac_f32_e32 v92, v98, v101
	v_dual_add_f32 v62, v62, v63 :: v_dual_sub_f32 v63, v15, v14
	v_sub_f32_e32 v11, v11, v17
	v_fma_f32 v99, -0.5, v99, v70
	v_add_f32_e32 v12, v50, v12
	v_sub_f32_e32 v50, v21, v14
	v_dual_add_f32 v102, v60, v24 :: v_dual_add_f32 v21, v51, v21
	s_wait_loadcnt 0xc
	v_mul_f32_e32 v51, v80, v90
	v_dual_sub_f32 v98, v20, v48 :: v_dual_add_f32 v101, v10, v49
	v_dual_add_f32 v78, v72, v29 :: v_dual_sub_f32 v49, v125, v22
	v_dual_fmac_f32 v70, -0.5, v73 :: v_dual_add_f32 v73, v30, v20
	v_add_f32_e32 v83, v83, v86
	v_dual_add_f32 v86, v120, v18 :: v_dual_add_f32 v85, v95, v85
	v_add_f32_e32 v95, v97, v98
	v_sub_f32_e32 v97, v120, v18
	v_dual_add_f32 v81, v82, v81 :: v_dual_add_f32 v82, v71, v60
	v_add_f32_e32 v98, v61, v63
	v_add_f32_e32 v61, v69, v128
	v_sub_f32_e32 v63, v59, v13
	v_dual_add_f32 v59, v78, v59 :: v_dual_fmac_f32 v72, -0.5, v84
	v_sub_f32_e32 v84, v126, v32
	v_dual_add_f32 v14, v21, v14 :: v_dual_fmamk_f32 v21, v11, 0xbf737871, v41
	v_fmac_f32_e32 v41, 0x3f737871, v11
	v_fma_f32 v125, -0.5, v86, v71
	v_fma_f32 v71, -0.5, v102, v71
	;; [unrolled: 1-line block ×3, first 2 shown]
	v_dual_sub_f32 v10, v30, v20 :: v_dual_fmamk_f32 v73, v84, 0xbf737871, v124
	v_dual_sub_f32 v29, v29, v19 :: v_dual_sub_f32 v60, v60, v24
	s_delay_alu instid0(VALU_DEP_3)
	v_dual_fmamk_f32 v133, v31, 0xbf737871, v102 :: v_dual_add_f32 v82, v82, v120
	v_dual_sub_f32 v120, v128, v48 :: v_dual_fmac_f32 v41, 0x3f167918, v77
	v_add_f32_e32 v30, v61, v30
	v_mul_f32_e32 v90, v79, v90
	v_add_f32_e32 v13, v59, v13
	v_dual_fmamk_f32 v59, v77, 0x3f737871, v74 :: v_dual_add_f32 v16, v16, v32
	v_fmamk_f32 v61, v49, 0x3f737871, v123
	v_fma_f32 v131, v79, v89, -v51
	v_fmamk_f32 v135, v120, 0x3f737871, v99
	s_delay_alu instid0(VALU_DEP_4) | instskip(SKIP_4) | instid1(VALU_DEP_3)
	v_dual_fmac_f32 v59, 0xbf167918, v11 :: v_dual_add_f32 v16, v16, v22
	v_fmamk_f32 v126, v29, 0xbf737871, v125
	v_dual_fmac_f32 v125, 0x3f737871, v29 :: v_dual_add_f32 v12, v12, v23
	v_fmac_f32_e32 v61, 0x3f167918, v84
	v_dual_fmac_f32 v99, 0xbf737871, v120 :: v_dual_fmac_f32 v90, v80, v89
	v_fmac_f32_e32 v125, 0x3f167918, v63
	v_dual_fmamk_f32 v89, v60, 0x3f737871, v100 :: v_dual_add_f32 v18, v82, v18
	v_fmac_f32_e32 v74, 0xbf737871, v77
	v_dual_add_f32 v78, v128, v48 :: v_dual_fmac_f32 v21, 0xbf167918, v77
	v_fmac_f32_e32 v123, 0xbf737871, v49
	v_fmac_f32_e32 v61, 0x3e9e377a, v64
	v_fmamk_f32 v128, v63, 0x3f737871, v71
	v_fmac_f32_e32 v71, 0xbf737871, v63
	v_dual_fmac_f32 v74, 0x3f167918, v11 :: v_dual_fmac_f32 v89, 0x3f167918, v97
	v_dual_add_f32 v11, v12, v17 :: v_dual_add_f32 v20, v30, v20
	v_fmac_f32_e32 v73, 0x3f167918, v49
	v_fmamk_f32 v132, v97, 0xbf737871, v72
	v_fmac_f32_e32 v123, 0xbf167918, v84
	s_delay_alu instid0(VALU_DEP_4)
	v_mul_f32_e32 v51, v11, v52
	v_fmac_f32_e32 v124, 0x3f737871, v84
	v_fmac_f32_e32 v71, 0x3f167918, v29
	;; [unrolled: 1-line block ×6, first 2 shown]
	s_delay_alu instid0(VALU_DEP_4) | instskip(SKIP_4) | instid1(VALU_DEP_4)
	v_dual_fmac_f32 v133, 0xbf167918, v50 :: v_dual_fmac_f32 v100, 0xbf167918, v97
	v_dual_add_f32 v97, v14, v15 :: v_dual_fmac_f32 v124, 0xbf167918, v49
	v_dual_fmac_f32 v59, 0x3e9e377a, v62 :: v_dual_add_f32 v138, v13, v19
	v_fmac_f32_e32 v135, 0x3f167918, v10
	v_or_b32_e32 v13, 64, v118
	v_dual_fmac_f32 v124, 0x3e9e377a, v9 :: v_dual_mul_f32 v9, v16, v52
	v_dual_fmac_f32 v41, 0x3e9e377a, v57 :: v_dual_fmac_f32 v74, 0x3e9e377a, v62
	s_delay_alu instid0(VALU_DEP_3) | instskip(SKIP_1) | instid1(VALU_DEP_4)
	v_mul_lo_u32 v15, v65, v13
	v_add_f32_e32 v137, v18, v24
	v_fma_f32 v52, v11, v75, -v9
	v_or_b32_e32 v11, 32, v118
	v_dual_fmac_f32 v126, 0xbf167918, v63 :: v_dual_fmac_f32 v99, 0xbf167918, v10
	v_mul_f32_e32 v62, v41, v94
	v_fma_f32 v69, -0.5, v78, v69
	s_delay_alu instid0(VALU_DEP_4)
	v_mul_lo_u32 v11, v65, v11
	v_dual_add_f32 v48, v20, v48 :: v_dual_and_b32 v19, 0xff, v15
	v_dual_fmac_f32 v21, 0x3e9e377a, v57 :: v_dual_fmac_f32 v126, 0x3e9e377a, v42
	v_dual_mul_f32 v49, v61, v76 :: v_dual_fmac_f32 v102, 0x3f737871, v31
	v_fmac_f32_e32 v128, 0xbf167918, v29
	v_and_b32_e32 v17, 0xff, v11
	v_fmamk_f32 v136, v10, 0xbf737871, v70
	v_fmac_f32_e32 v70, 0x3f737871, v10
	v_mul_lo_u32 v10, v65, v118
	v_mul_f32_e32 v75, v73, v88
	v_and_b32_e32 v9, 0x7f8, v127
	v_dual_fmac_f32 v123, 0x3e9e377a, v64 :: v_dual_fmac_f32 v128, 0x3e9e377a, v43
	v_dual_fmac_f32 v125, 0x3e9e377a, v42 :: v_dual_fmac_f32 v100, 0x3e9e377a, v81
	v_dual_fmac_f32 v49, v21, v129 :: v_dual_and_b32 v14, 0xff, v10
	v_fmac_f32_e32 v102, 0x3f167918, v50
	v_fmac_f32_e32 v71, 0x3e9e377a, v43
	;; [unrolled: 1-line block ×4, first 2 shown]
	v_dual_fmac_f32 v72, 0xbf167918, v60 :: v_dual_lshlrev_b32 v13, 3, v14
	v_fmac_f32_e32 v89, 0x3e9e377a, v81
	s_clause 0x3
	global_load_b64 v[42:43], v121, s[0:1]
	global_load_b64 v[77:78], v122, s[0:1] offset:2048
	global_load_b64 v[79:80], v58, s[0:1]
	global_load_b64 v[81:82], v9, s[0:1] offset:2048
	v_and_b32_e32 v9, 0xff, v119
	v_lshrrev_b32_e32 v12, 5, v119
	v_lshrrev_b32_e32 v10, 5, v10
	v_or_b32_e32 v14, 0x60, v118
	v_fmac_f32_e32 v72, 0x3e9e377a, v83
	v_fmac_f32_e32 v102, 0x3e9e377a, v85
	v_and_b32_e32 v12, 0x7f8, v12
	v_lshrrev_b32_e32 v18, 5, v11
	v_mul_lo_u32 v20, v65, v14
	v_or_b32_e32 v16, 0x80, v118
	v_lshrrev_b32_e32 v15, 5, v15
	v_fma_f32 v64, v123, v91, -v62
	v_mul_f32_e32 v63, v123, v94
	v_and_b32_e32 v10, 0x7f8, v10
	v_mul_lo_u32 v16, v65, v16
	v_and_b32_e32 v15, 0x7f8, v15
	s_delay_alu instid0(VALU_DEP_4)
	v_fmac_f32_e32 v63, v41, v91
	s_wait_loadcnt 0xc
	v_mul_f32_e32 v58, v33, v36
	v_mul_f32_e32 v36, v34, v36
	v_dual_fmamk_f32 v134, v50, 0x3f737871, v69 :: v_dual_lshlrev_b32 v9, 3, v9
	v_dual_fmac_f32 v69, 0xbf737871, v50 :: v_dual_mul_f32 v50, v21, v76
	v_fmac_f32_e32 v132, 0x3f167918, v60
	s_delay_alu instid0(VALU_DEP_3) | instskip(NEXT) | instid1(VALU_DEP_3)
	v_fmac_f32_e32 v134, 0xbf167918, v31
	v_dual_mul_f32 v60, v137, v92 :: v_dual_fmac_f32 v69, 0x3f167918, v31
	s_delay_alu instid0(VALU_DEP_4) | instskip(NEXT) | instid1(VALU_DEP_3)
	v_fma_f32 v50, v61, v129, -v50
	v_dual_mul_f32 v61, v138, v92 :: v_dual_fmac_f32 v134, 0x3e9e377a, v95
	v_fmac_f32_e32 v132, 0x3e9e377a, v83
	s_clause 0x3
	global_load_b64 v[83:84], v9, s[0:1]
	global_load_b64 v[85:86], v12, s[0:1] offset:2048
	global_load_b64 v[11:12], v13, s[0:1]
	global_load_b64 v[13:14], v10, s[0:1] offset:2048
	v_lshlrev_b32_e32 v9, 3, v17
	v_and_b32_e32 v10, 0x7f8, v18
	v_lshlrev_b32_e32 v17, 3, v19
	v_and_b32_e32 v18, 0xff, v20
	v_lshrrev_b32_e32 v19, 5, v20
	v_fma_f32 v33, v33, v35, -v36
	v_fmac_f32_e32 v58, v34, v35
	v_and_b32_e32 v20, 0xff, v16
	v_lshrrev_b32_e32 v16, 5, v16
	v_dual_fmac_f32 v69, 0x3e9e377a, v95 :: v_dual_lshlrev_b32 v18, 3, v18
	s_wait_loadcnt 0xe
	v_dual_mul_f32 v36, v54, v56 :: v_dual_and_b32 v19, 0x7f8, v19
	s_delay_alu instid0(VALU_DEP_3)
	v_dual_mul_f32 v35, v128, v58 :: v_dual_and_b32 v16, 0x7f8, v16
	v_dual_mul_f32 v34, v126, v90 :: v_dual_lshlrev_b32 v57, 3, v20
	s_clause 0x7
	global_load_b64 v[29:30], v9, s[0:1]
	global_load_b64 v[31:32], v10, s[0:1] offset:2048
	global_load_b64 v[21:22], v17, s[0:1]
	global_load_b64 v[23:24], v15, s[0:1] offset:2048
	;; [unrolled: 2-line block ×4, first 2 shown]
	v_mul_f32_e32 v57, v59, v88
	v_fmac_f32_e32 v136, 0x3f167918, v120
	v_fmac_f32_e32 v70, 0xbf167918, v120
	v_fma_f32 v62, v138, v96, -v60
	v_fma_f32 v60, v89, v131, -v34
	;; [unrolled: 1-line block ×3, first 2 shown]
	v_mul_f32_e32 v57, v74, v87
	v_dual_mul_f32 v73, v124, v87 :: v_dual_mul_f32 v34, v53, v56
	s_wait_loadcnt 0x12
	v_mul_f32_e32 v41, v45, v47
	v_dual_fmac_f32 v135, 0x3e9e377a, v98 :: v_dual_fmac_f32 v70, 0x3e9e377a, v101
	s_delay_alu instid0(VALU_DEP_3)
	v_fmac_f32_e32 v73, v74, v93
	v_fma_f32 v74, v124, v93, -v57
	v_mul_f32_e32 v57, v132, v58
	v_fma_f32 v58, v132, v33, -v35
	v_mul_f32_e32 v35, v111, v113
	v_dual_fmac_f32 v136, 0x3e9e377a, v101 :: v_dual_mul_f32 v59, v89, v90
	s_delay_alu instid0(VALU_DEP_4)
	v_fmac_f32_e32 v57, v128, v33
	v_fma_f32 v33, v53, v55, -v36
	v_dual_mul_f32 v36, v110, v113 :: v_dual_mul_f32 v87, v44, v47
	v_fma_f32 v35, v110, v112, -v35
	v_fma_f32 v44, v44, v46, -v41
	v_fmac_f32_e32 v61, v137, v96
	s_delay_alu instid0(VALU_DEP_4)
	v_fmac_f32_e32 v36, v111, v112
	v_dual_fmac_f32 v34, v54, v55 :: v_dual_fmac_f32 v87, v45, v46
	s_wait_loadcnt 0x10
	v_mul_f32_e32 v88, v114, v117
	v_mul_f32_e32 v41, v115, v117
	;; [unrolled: 1-line block ×4, first 2 shown]
	s_delay_alu instid0(VALU_DEP_4) | instskip(SKIP_3) | instid1(VALU_DEP_4)
	v_dual_mul_f32 v55, v72, v34 :: v_dual_fmac_f32 v88, v115, v116
	v_mul_f32_e32 v34, v125, v36
	v_mul_f32_e32 v47, v97, v87
	v_fma_f32 v46, v114, v116, -v41
	v_fmac_f32_e32 v55, v71, v33
	v_dual_fmac_f32 v99, 0x3e9e377a, v98 :: v_dual_mul_f32 v36, v133, v88
	v_fma_f32 v54, v100, v35, -v34
	v_mul_f32_e32 v34, v48, v87
	v_fmac_f32_e32 v53, v125, v35
	v_fmac_f32_e32 v47, v48, v44
	v_fma_f32 v56, v72, v33, -v45
	v_mul_f32_e32 v41, v135, v88
	v_fma_f32 v48, v97, v44, -v34
	v_fmac_f32_e32 v59, v126, v131
	s_wait_loadcnt 0xe
	v_mul_f32_e32 v33, v42, v78
	s_wait_loadcnt 0xa
	v_mul_f32_e32 v44, v83, v86
	s_delay_alu instid0(VALU_DEP_1) | instskip(NEXT) | instid1(VALU_DEP_1)
	v_dual_mul_f32 v35, v43, v78 :: v_dual_fmac_f32 v44, v84, v85
	v_fma_f32 v34, v42, v77, -v35
	v_fma_f32 v42, v135, v46, -v36
	v_mul_f32_e32 v36, v79, v82
	v_fmac_f32_e32 v41, v133, v46
	v_mul_f32_e32 v35, v80, v82
	s_delay_alu instid0(VALU_DEP_3) | instskip(SKIP_2) | instid1(VALU_DEP_2)
	v_fmac_f32_e32 v36, v80, v81
	v_fmac_f32_e32 v33, v43, v77
	v_mul_f32_e32 v43, v99, v44
	v_dual_mul_f32 v44, v102, v44 :: v_dual_mul_f32 v45, v136, v33
	v_mul_f32_e32 v33, v134, v33
	s_delay_alu instid0(VALU_DEP_2) | instskip(NEXT) | instid1(VALU_DEP_2)
	v_fmac_f32_e32 v45, v134, v34
	v_fma_f32 v46, v136, v34, -v33
	v_mul_f32_e32 v34, v84, v86
	v_fma_f32 v33, v79, v81, -v35
	v_mul_f32_e32 v35, v70, v36
	v_mul_f32_e32 v36, v69, v36
	s_delay_alu instid0(VALU_DEP_4) | instskip(NEXT) | instid1(VALU_DEP_3)
	v_fma_f32 v34, v83, v85, -v34
	v_fmac_f32_e32 v35, v69, v33
	s_delay_alu instid0(VALU_DEP_3) | instskip(NEXT) | instid1(VALU_DEP_3)
	v_fma_f32 v36, v70, v33, -v36
	v_fmac_f32_e32 v43, v102, v34
	v_fma_f32 v44, v99, v34, -v44
	s_wait_alu 0xfffe
	s_cbranch_vccnz .LBB0_18
; %bb.17:
	v_cmp_lt_u32_e32 vcc_lo, 0x27f, v0
	s_lshl_b64 s[14:15], s[10:11], 3
	v_and_or_b32 v86, 0x180, v109, v107
	s_wait_alu 0xfffe
	s_add_nc_u64 s[14:15], s[8:9], s[14:15]
	s_mov_b32 s0, 0
	s_wait_alu 0xfffd
	v_cndmask_b32_e64 v33, 0, 0xa0, vcc_lo
	s_and_b32 s16, s2, exec_lo
	s_delay_alu instid0(VALU_DEP_1) | instskip(SKIP_1) | instid1(VALU_DEP_2)
	v_or_b32_e32 v83, v103, v33
	v_mad_co_u64_u32 v[33:34], null, s6, v104, 0
	v_add_nc_u32_e32 v81, 32, v83
	v_mad_co_u64_u32 v[69:70], null, s4, v83, 0
	v_or_b32_e32 v84, 64, v83
	s_delay_alu instid0(VALU_DEP_4) | instskip(NEXT) | instid1(VALU_DEP_4)
	v_mad_co_u64_u32 v[77:78], null, s7, v104, v[34:35]
	v_mad_co_u64_u32 v[71:72], null, s4, v81, 0
	s_delay_alu instid0(VALU_DEP_2) | instskip(NEXT) | instid1(VALU_DEP_2)
	v_dual_mov_b32 v34, v77 :: v_dual_add_nc_u32 v85, 0x60, v83
	v_mad_co_u64_u32 v[78:79], null, s5, v83, v[70:71]
	s_delay_alu instid0(VALU_DEP_3) | instskip(SKIP_1) | instid1(VALU_DEP_4)
	v_mov_b32_e32 v70, v72
	v_mad_co_u64_u32 v[79:80], null, s4, v84, 0
	v_lshlrev_b64_e32 v[33:34], 3, v[33:34]
	v_add_nc_u32_e32 v83, 0x80, v83
	s_delay_alu instid0(VALU_DEP_4) | instskip(NEXT) | instid1(VALU_DEP_4)
	v_mad_co_u64_u32 v[81:82], null, s5, v81, v[70:71]
	v_dual_mov_b32 v70, v78 :: v_dual_mov_b32 v77, v80
	s_wait_alu 0xfffe
	s_delay_alu instid0(VALU_DEP_4) | instskip(NEXT) | instid1(VALU_DEP_2)
	v_add_co_u32 v33, vcc_lo, s14, v33
	v_lshlrev_b64_e32 v[69:70], 3, v[69:70]
	s_delay_alu instid0(VALU_DEP_4) | instskip(SKIP_3) | instid1(VALU_DEP_3)
	v_mov_b32_e32 v72, v81
	s_wait_alu 0xfffd
	v_add_co_ci_u32_e32 v34, vcc_lo, s15, v34, vcc_lo
	v_mad_co_u64_u32 v[77:78], null, s5, v84, v[77:78]
	v_lshlrev_b64_e32 v[71:72], 3, v[71:72]
	v_add_co_u32 v69, vcc_lo, v33, v69
	s_wait_alu 0xfffd
	v_add_co_ci_u32_e32 v70, vcc_lo, v34, v70, vcc_lo
	v_mad_co_u64_u32 v[81:82], null, s4, v85, 0
	s_delay_alu instid0(VALU_DEP_4)
	v_add_co_u32 v71, vcc_lo, v33, v71
	s_wait_alu 0xfffd
	v_add_co_ci_u32_e32 v72, vcc_lo, v34, v72, vcc_lo
	v_mov_b32_e32 v80, v77
	global_store_b64 v[69:70], v[51:52], off
	v_mov_b32_e32 v69, v82
	global_store_b64 v[71:72], v[49:50], off
	v_mad_co_u64_u32 v[77:78], null, s4, v83, 0
	v_lshlrev_b64_e32 v[70:71], 3, v[79:80]
	s_delay_alu instid0(VALU_DEP_1) | instskip(NEXT) | instid1(VALU_DEP_3)
	v_mad_co_u64_u32 v[79:80], null, s5, v85, v[69:70]
	v_mov_b32_e32 v69, v78
	v_add_co_u32 v70, vcc_lo, v33, v70
	s_wait_alu 0xfffd
	s_delay_alu instid0(VALU_DEP_4) | instskip(NEXT) | instid1(VALU_DEP_4)
	v_add_co_ci_u32_e32 v71, vcc_lo, v34, v71, vcc_lo
	v_mov_b32_e32 v82, v79
	s_delay_alu instid0(VALU_DEP_3)
	v_mad_co_u64_u32 v[83:84], null, s5, v83, v[69:70]
	v_mad_co_u64_u32 v[84:85], null, s4, v86, 0
	v_add_nc_u32_e32 v87, 32, v86
	global_store_b64 v[70:71], v[75:76], off
	v_lshlrev_b64_e32 v[69:70], 3, v[81:82]
	v_mov_b32_e32 v78, v83
	v_mad_co_u64_u32 v[79:80], null, s4, v87, 0
	v_mov_b32_e32 v71, v85
	s_delay_alu instid0(VALU_DEP_4) | instskip(NEXT) | instid1(VALU_DEP_4)
	v_add_co_u32 v69, vcc_lo, v33, v69
	v_lshlrev_b64_e32 v[77:78], 3, v[77:78]
	s_wait_alu 0xfffd
	v_add_co_ci_u32_e32 v70, vcc_lo, v34, v70, vcc_lo
	v_mad_co_u64_u32 v[71:72], null, s5, v86, v[71:72]
	v_mov_b32_e32 v72, v80
	s_delay_alu instid0(VALU_DEP_4) | instskip(SKIP_2) | instid1(VALU_DEP_3)
	v_add_co_u32 v77, vcc_lo, v33, v77
	s_wait_alu 0xfffd
	v_add_co_ci_u32_e32 v78, vcc_lo, v34, v78, vcc_lo
	v_mad_co_u64_u32 v[80:81], null, s5, v87, v[72:73]
	v_add_nc_u32_e32 v87, 0x60, v86
	s_clause 0x1
	global_store_b64 v[69:70], v[73:74], off
	global_store_b64 v[77:78], v[63:64], off
	v_mov_b32_e32 v85, v71
	v_mad_co_u64_u32 v[77:78], null, s4, v87, 0
	v_add_nc_u32_e32 v83, 64, v86
	s_delay_alu instid0(VALU_DEP_3) | instskip(SKIP_2) | instid1(VALU_DEP_4)
	v_lshlrev_b64_e32 v[69:70], 3, v[84:85]
	v_lshlrev_b64_e32 v[79:80], 3, v[79:80]
	v_and_or_b32 v85, 0x180, v108, v106
	v_mad_co_u64_u32 v[81:82], null, s4, v83, 0
	s_delay_alu instid0(VALU_DEP_4) | instskip(SKIP_2) | instid1(VALU_DEP_3)
	v_add_co_u32 v69, vcc_lo, v33, v69
	s_wait_alu 0xfffd
	v_add_co_ci_u32_e32 v70, vcc_lo, v34, v70, vcc_lo
	v_mov_b32_e32 v71, v82
	global_store_b64 v[69:70], v[61:62], off
	v_mad_co_u64_u32 v[71:72], null, s5, v83, v[71:72]
	v_mov_b32_e32 v72, v78
	v_add_co_u32 v78, vcc_lo, v33, v79
	s_wait_alu 0xfffd
	v_add_co_ci_u32_e32 v79, vcc_lo, v34, v80, vcc_lo
	v_add_nc_u32_e32 v80, 0x80, v86
	v_mov_b32_e32 v82, v71
	v_mad_co_u64_u32 v[71:72], null, s5, v87, v[72:73]
	global_store_b64 v[78:79], v[59:60], off
	v_mad_co_u64_u32 v[83:84], null, s4, v80, 0
	v_lshlrev_b64_e32 v[69:70], 3, v[81:82]
	v_add_nc_u32_e32 v82, 32, v85
                                        ; kill: def $vgpr72 killed $sgpr0 killed $exec
	v_add_nc_u32_e32 v86, 0x60, v85
	v_dual_mov_b32 v78, v71 :: v_dual_add_nc_u32 v87, 0x80, v85
	v_mov_b32_e32 v71, v84
	v_add_co_u32 v69, vcc_lo, v33, v69
	s_wait_alu 0xfffd
	v_add_co_ci_u32_e32 v70, vcc_lo, v34, v70, vcc_lo
	s_delay_alu instid0(VALU_DEP_3)
	v_mad_co_u64_u32 v[71:72], null, s5, v80, v[71:72]
	v_mad_co_u64_u32 v[79:80], null, s4, v85, 0
	v_lshlrev_b64_e32 v[77:78], 3, v[77:78]
	global_store_b64 v[69:70], v[57:58], off
                                        ; kill: def $vgpr70 killed $sgpr0 killed $exec
	v_mov_b32_e32 v84, v71
	v_mad_co_u64_u32 v[71:72], null, s4, v82, 0
	v_mov_b32_e32 v69, v80
	v_add_co_u32 v77, vcc_lo, v33, v77
	s_delay_alu instid0(VALU_DEP_4)
	v_lshlrev_b64_e32 v[80:81], 3, v[83:84]
	s_wait_alu 0xfffd
	v_add_co_ci_u32_e32 v78, vcc_lo, v34, v78, vcc_lo
	v_mad_co_u64_u32 v[69:70], null, s5, v85, v[69:70]
	v_dual_mov_b32 v70, v72 :: v_dual_add_nc_u32 v83, 64, v85
	global_store_b64 v[77:78], v[55:56], off
	v_add_co_u32 v77, vcc_lo, v33, v80
	s_wait_alu 0xfffd
	v_add_co_ci_u32_e32 v78, vcc_lo, v34, v81, vcc_lo
	v_mad_co_u64_u32 v[81:82], null, s5, v82, v[70:71]
	v_mov_b32_e32 v80, v69
	v_mad_co_u64_u32 v[69:70], null, s4, v83, 0
	global_store_b64 v[77:78], v[53:54], off
	v_lshlrev_b64_e32 v[77:78], 3, v[79:80]
	v_mov_b32_e32 v72, v81
	v_mad_co_u64_u32 v[79:80], null, s4, v86, 0
	v_mad_co_u64_u32 v[81:82], null, s4, v87, 0
	s_delay_alu instid0(VALU_DEP_3) | instskip(SKIP_3) | instid1(VALU_DEP_3)
	v_lshlrev_b64_e32 v[71:72], 3, v[71:72]
	v_add_co_u32 v77, vcc_lo, v33, v77
	s_wait_alu 0xfffd
	v_add_co_ci_u32_e32 v78, vcc_lo, v34, v78, vcc_lo
	v_mad_co_u64_u32 v[83:84], null, s5, v83, v[70:71]
	v_mad_co_u64_u32 v[84:85], null, s5, v86, v[80:81]
	v_mov_b32_e32 v80, v82
	v_add_co_u32 v71, vcc_lo, v33, v71
	s_wait_alu 0xfffd
	v_add_co_ci_u32_e32 v72, vcc_lo, v34, v72, vcc_lo
	v_mov_b32_e32 v70, v83
	v_mad_co_u64_u32 v[82:83], null, s5, v87, v[80:81]
	v_mov_b32_e32 v80, v84
	global_store_b64 v[77:78], v[47:48], off
	v_lshlrev_b64_e32 v[69:70], 3, v[69:70]
	global_store_b64 v[71:72], v[41:42], off
	v_lshlrev_b64_e32 v[71:72], 3, v[79:80]
	v_lshlrev_b64_e32 v[77:78], 3, v[81:82]
	v_add_co_u32 v69, vcc_lo, v33, v69
	s_wait_alu 0xfffd
	v_add_co_ci_u32_e32 v70, vcc_lo, v34, v70, vcc_lo
	s_delay_alu instid0(VALU_DEP_4)
	v_add_co_u32 v71, vcc_lo, v33, v71
	s_wait_alu 0xfffd
	v_add_co_ci_u32_e32 v72, vcc_lo, v34, v72, vcc_lo
	v_add_co_u32 v77, vcc_lo, v33, v77
	s_wait_alu 0xfffd
	v_add_co_ci_u32_e32 v78, vcc_lo, v34, v78, vcc_lo
	s_clause 0x2
	global_store_b64 v[69:70], v[45:46], off
	global_store_b64 v[71:72], v[35:36], off
	;; [unrolled: 1-line block ×3, first 2 shown]
	s_cbranch_execz .LBB0_19
	s_branch .LBB0_22
.LBB0_18:
                                        ; implicit-def: $vgpr33_vgpr34
.LBB0_19:
	s_mov_b32 s0, exec_lo
                                        ; implicit-def: $vgpr33_vgpr34
	v_cmpx_gt_u64_e64 s[12:13], v[65:66]
	s_cbranch_execz .LBB0_21
; %bb.20:
	v_cmp_lt_u32_e32 vcc_lo, 0x27f, v0
	v_mad_co_u64_u32 v[33:34], null, s6, v104, 0
	s_lshl_b64 s[10:11], s[10:11], 3
	s_and_not1_b32 s1, s16, exec_lo
	s_wait_alu 0xfffd
	v_cndmask_b32_e64 v0, 0, 0xa0, vcc_lo
	s_and_b32 s2, s2, exec_lo
	s_wait_alu 0xfffe
	s_or_b32 s16, s1, s2
	s_delay_alu instid0(VALU_DEP_1) | instskip(SKIP_1) | instid1(VALU_DEP_2)
	v_or_b32_e32 v81, v103, v0
	v_mov_b32_e32 v0, v34
	v_mad_co_u64_u32 v[65:66], null, s4, v81, 0
	v_add_nc_u32_e32 v72, 32, v81
	s_delay_alu instid0(VALU_DEP_3) | instskip(SKIP_2) | instid1(VALU_DEP_3)
	v_mad_co_u64_u32 v[69:70], null, s7, v104, v[0:1]
	v_or_b32_e32 v80, 64, v81
	s_add_nc_u64 s[6:7], s[8:9], s[10:11]
	v_mad_co_u64_u32 v[70:71], null, s4, v72, 0
	v_mov_b32_e32 v0, v66
	s_delay_alu instid0(VALU_DEP_1) | instskip(SKIP_1) | instid1(VALU_DEP_4)
	v_mad_co_u64_u32 v[77:78], null, s5, v81, v[0:1]
	v_mad_co_u64_u32 v[78:79], null, s4, v80, 0
	v_mov_b32_e32 v0, v71
	s_delay_alu instid0(VALU_DEP_3) | instskip(NEXT) | instid1(VALU_DEP_2)
	v_mov_b32_e32 v66, v77
	v_mad_co_u64_u32 v[71:72], null, s5, v72, v[0:1]
	s_delay_alu instid0(VALU_DEP_4) | instskip(NEXT) | instid1(VALU_DEP_3)
	v_dual_mov_b32 v0, v79 :: v_dual_add_nc_u32 v77, 0x60, v81
	v_lshlrev_b64_e32 v[65:66], 3, v[65:66]
	s_delay_alu instid0(VALU_DEP_2)
	v_mad_co_u64_u32 v[79:80], null, s5, v80, v[0:1]
	v_add_nc_u32_e32 v80, 0x80, v81
	v_and_or_b32 v81, 0x180, v109, v107
	v_mov_b32_e32 v34, v69
	v_lshlrev_b64_e32 v[69:70], 3, v[70:71]
	v_lshlrev_b64_e32 v[71:72], 3, v[78:79]
	s_delay_alu instid0(VALU_DEP_3) | instskip(SKIP_1) | instid1(VALU_DEP_1)
	v_lshlrev_b64_e32 v[33:34], 3, v[33:34]
	s_wait_alu 0xfffe
	v_add_co_u32 v33, vcc_lo, s6, v33
	s_wait_alu 0xfffd
	s_delay_alu instid0(VALU_DEP_2) | instskip(NEXT) | instid1(VALU_DEP_2)
	v_add_co_ci_u32_e32 v34, vcc_lo, s7, v34, vcc_lo
	v_add_co_u32 v65, vcc_lo, v33, v65
	s_wait_alu 0xfffd
	s_delay_alu instid0(VALU_DEP_2)
	v_add_co_ci_u32_e32 v66, vcc_lo, v34, v66, vcc_lo
	v_add_co_u32 v69, vcc_lo, v33, v69
	s_wait_alu 0xfffd
	v_add_co_ci_u32_e32 v70, vcc_lo, v34, v70, vcc_lo
	global_store_b64 v[65:66], v[51:52], off
	v_mad_co_u64_u32 v[51:52], null, s4, v77, 0
	v_mad_co_u64_u32 v[65:66], null, s4, v80, 0
	v_add_co_u32 v71, vcc_lo, v33, v71
	s_wait_alu 0xfffd
	v_add_co_ci_u32_e32 v72, vcc_lo, v34, v72, vcc_lo
	s_delay_alu instid0(VALU_DEP_4)
	v_mov_b32_e32 v0, v52
	global_store_b64 v[69:70], v[49:50], off
	v_mov_b32_e32 v52, v66
	global_store_b64 v[71:72], v[75:76], off
	v_add_nc_u32_e32 v71, 32, v81
	v_mad_co_u64_u32 v[77:78], null, s5, v77, v[0:1]
	v_mad_co_u64_u32 v[78:79], null, s5, v80, v[52:53]
	;; [unrolled: 1-line block ×3, first 2 shown]
	s_delay_alu instid0(VALU_DEP_4) | instskip(NEXT) | instid1(VALU_DEP_4)
	v_mad_co_u64_u32 v[69:70], null, s4, v71, 0
	v_mov_b32_e32 v52, v77
	v_add_nc_u32_e32 v72, 64, v81
	v_mov_b32_e32 v66, v78
	v_mov_b32_e32 v0, v80
	s_delay_alu instid0(VALU_DEP_4) | instskip(NEXT) | instid1(VALU_DEP_3)
	v_lshlrev_b64_e32 v[49:50], 3, v[51:52]
	v_lshlrev_b64_e32 v[65:66], 3, v[65:66]
	s_delay_alu instid0(VALU_DEP_3) | instskip(NEXT) | instid1(VALU_DEP_3)
	v_mad_co_u64_u32 v[51:52], null, s5, v81, v[0:1]
	v_add_co_u32 v49, vcc_lo, v33, v49
	s_wait_alu 0xfffd
	s_delay_alu instid0(VALU_DEP_4) | instskip(SKIP_1) | instid1(VALU_DEP_4)
	v_add_co_ci_u32_e32 v50, vcc_lo, v34, v50, vcc_lo
	v_mov_b32_e32 v0, v70
	v_mov_b32_e32 v80, v51
	global_store_b64 v[49:50], v[73:74], off
	v_add_co_u32 v49, vcc_lo, v33, v65
	s_wait_alu 0xfffd
	v_add_co_ci_u32_e32 v50, vcc_lo, v34, v66, vcc_lo
	v_mad_co_u64_u32 v[65:66], null, s4, v72, 0
	v_lshlrev_b64_e32 v[51:52], 3, v[79:80]
	v_mad_co_u64_u32 v[70:71], null, s5, v71, v[0:1]
	v_add_nc_u32_e32 v71, 0x60, v81
	global_store_b64 v[49:50], v[63:64], off
	v_and_or_b32 v73, 0x180, v108, v106
	v_add_co_u32 v51, vcc_lo, v33, v51
	v_mov_b32_e32 v0, v66
	s_wait_alu 0xfffd
	v_add_co_ci_u32_e32 v52, vcc_lo, v34, v52, vcc_lo
	s_delay_alu instid0(VALU_DEP_2)
	v_mad_co_u64_u32 v[49:50], null, s5, v72, v[0:1]
	v_add_nc_u32_e32 v72, 0x80, v81
	global_store_b64 v[51:52], v[61:62], off
	v_mad_co_u64_u32 v[61:62], null, s4, v71, 0
	v_lshlrev_b64_e32 v[50:51], 3, v[69:70]
	v_mad_co_u64_u32 v[63:64], null, s4, v72, 0
	v_mov_b32_e32 v66, v49
	v_mad_co_u64_u32 v[69:70], null, s4, v73, 0
	v_mov_b32_e32 v0, v62
	v_add_co_u32 v49, vcc_lo, v33, v50
	v_mov_b32_e32 v62, v64
	s_wait_alu 0xfffd
	v_add_co_ci_u32_e32 v50, vcc_lo, v34, v51, vcc_lo
	v_lshlrev_b64_e32 v[51:52], 3, v[65:66]
	v_mad_co_u64_u32 v[64:65], null, s5, v71, v[0:1]
	v_mad_co_u64_u32 v[65:66], null, s5, v72, v[62:63]
	v_mov_b32_e32 v0, v70
	s_delay_alu instid0(VALU_DEP_4)
	v_add_co_u32 v51, vcc_lo, v33, v51
	s_wait_alu 0xfffd
	v_add_co_ci_u32_e32 v52, vcc_lo, v34, v52, vcc_lo
	v_mov_b32_e32 v62, v64
	v_mov_b32_e32 v64, v65
	s_clause 0x1
	global_store_b64 v[49:50], v[59:60], off
	global_store_b64 v[51:52], v[57:58], off
	v_mad_co_u64_u32 v[51:52], null, s5, v73, v[0:1]
	v_lshlrev_b64_e32 v[49:50], 3, v[61:62]
	v_lshlrev_b64_e32 v[57:58], 3, v[63:64]
	v_add_nc_u32_e32 v59, 32, v73
	v_add_nc_u32_e32 v60, 64, v73
	;; [unrolled: 1-line block ×4, first 2 shown]
	v_add_co_u32 v49, vcc_lo, v33, v49
	s_wait_alu 0xfffd
	v_add_co_ci_u32_e32 v50, vcc_lo, v34, v50, vcc_lo
	v_mov_b32_e32 v70, v51
	v_mad_co_u64_u32 v[51:52], null, s4, v59, 0
	v_add_co_u32 v57, vcc_lo, v33, v57
	s_wait_alu 0xfffd
	v_add_co_ci_u32_e32 v58, vcc_lo, v34, v58, vcc_lo
	global_store_b64 v[49:50], v[55:56], off
	v_lshlrev_b64_e32 v[49:50], 3, v[69:70]
	v_mov_b32_e32 v0, v52
	global_store_b64 v[57:58], v[53:54], off
	v_mad_co_u64_u32 v[53:54], null, s4, v60, 0
	v_mad_co_u64_u32 v[55:56], null, s5, v59, v[0:1]
	;; [unrolled: 1-line block ×3, first 2 shown]
	v_add_co_u32 v49, vcc_lo, v33, v49
	s_delay_alu instid0(VALU_DEP_4) | instskip(SKIP_3) | instid1(VALU_DEP_3)
	v_mov_b32_e32 v0, v54
	s_wait_alu 0xfffd
	v_add_co_ci_u32_e32 v50, vcc_lo, v34, v50, vcc_lo
	v_mov_b32_e32 v52, v55
	v_mad_co_u64_u32 v[58:59], null, s5, v60, v[0:1]
	v_mad_co_u64_u32 v[59:60], null, s4, v62, 0
	v_mov_b32_e32 v0, v57
	global_store_b64 v[49:50], v[47:48], off
	v_lshlrev_b64_e32 v[47:48], 3, v[51:52]
	v_mov_b32_e32 v54, v58
	v_mad_co_u64_u32 v[50:51], null, s5, v61, v[0:1]
	v_mov_b32_e32 v49, v60
	s_delay_alu instid0(VALU_DEP_4) | instskip(NEXT) | instid1(VALU_DEP_4)
	v_add_co_u32 v47, vcc_lo, v33, v47
	v_lshlrev_b64_e32 v[51:52], 3, v[53:54]
	s_wait_alu 0xfffd
	v_add_co_ci_u32_e32 v48, vcc_lo, v34, v48, vcc_lo
	v_mad_co_u64_u32 v[53:54], null, s5, v62, v[49:50]
	v_mov_b32_e32 v57, v50
	s_delay_alu instid0(VALU_DEP_4)
	v_add_co_u32 v49, vcc_lo, v33, v51
	s_wait_alu 0xfffd
	v_add_co_ci_u32_e32 v50, vcc_lo, v34, v52, vcc_lo
	global_store_b64 v[47:48], v[41:42], off
	v_mov_b32_e32 v60, v53
	v_lshlrev_b64_e32 v[41:42], 3, v[56:57]
	global_store_b64 v[49:50], v[45:46], off
	v_lshlrev_b64_e32 v[45:46], 3, v[59:60]
	v_add_co_u32 v41, vcc_lo, v33, v41
	s_wait_alu 0xfffd
	v_add_co_ci_u32_e32 v42, vcc_lo, v34, v42, vcc_lo
	s_delay_alu instid0(VALU_DEP_3)
	v_add_co_u32 v45, vcc_lo, v33, v45
	s_wait_alu 0xfffd
	v_add_co_ci_u32_e32 v46, vcc_lo, v34, v46, vcc_lo
	s_clause 0x1
	global_store_b64 v[41:42], v[35:36], off
	global_store_b64 v[45:46], v[43:44], off
.LBB0_21:
	s_or_b32 exec_lo, exec_lo, s0
.LBB0_22:
	s_and_saveexec_b32 s0, s16
	s_cbranch_execnz .LBB0_24
; %bb.23:
	s_nop 0
	s_sendmsg sendmsg(MSG_DEALLOC_VGPRS)
	s_endpgm
.LBB0_24:
	v_dual_mul_f32 v0, v6, v38 :: v_dual_mul_f32 v35, v8, v40
	v_mul_f32_e32 v36, v2, v26
	v_mul_f32_e32 v38, v5, v38
	;; [unrolled: 1-line block ×3, first 2 shown]
	s_delay_alu instid0(VALU_DEP_3) | instskip(SKIP_2) | instid1(VALU_DEP_4)
	v_dual_fmac_f32 v35, v7, v39 :: v_dual_fmac_f32 v36, v1, v25
	v_dual_fmac_f32 v0, v5, v37 :: v_dual_mul_f32 v5, v3, v28
	v_mul_f32_e32 v1, v1, v26
	v_fma_f32 v7, v8, v39, -v40
	v_fma_f32 v6, v6, v37, -v38
	v_add_f32_e32 v37, v35, v36
	v_fma_f32 v5, v4, v27, -v5
	v_fma_f32 v1, v2, v25, -v1
	v_mul_f32_e32 v4, v4, v28
	s_delay_alu instid0(VALU_DEP_4) | instskip(NEXT) | instid1(VALU_DEP_3)
	v_fma_f32 v26, -0.5, v37, v67
	v_sub_f32_e32 v25, v7, v1
	s_delay_alu instid0(VALU_DEP_3) | instskip(SKIP_2) | instid1(VALU_DEP_3)
	v_fmac_f32_e32 v4, v3, v27
	v_dual_sub_f32 v27, v0, v35 :: v_dual_sub_f32 v28, v6, v5
	v_add_f32_e32 v39, v7, v1
	v_sub_f32_e32 v37, v4, v36
	s_delay_alu instid0(VALU_DEP_3) | instskip(SKIP_1) | instid1(VALU_DEP_4)
	v_dual_add_f32 v8, v67, v0 :: v_dual_fmamk_f32 v3, v28, 0xbf737871, v26
	v_fmac_f32_e32 v26, 0x3f737871, v28
	v_fma_f32 v39, -0.5, v39, v68
	s_delay_alu instid0(VALU_DEP_3) | instskip(NEXT) | instid1(VALU_DEP_3)
	v_dual_add_f32 v8, v8, v35 :: v_dual_fmac_f32 v3, 0xbf167918, v25
	v_fmac_f32_e32 v26, 0x3f167918, v25
	s_delay_alu instid0(VALU_DEP_2) | instskip(SKIP_1) | instid1(VALU_DEP_1)
	v_add_f32_e32 v2, v8, v36
	v_add_f32_e32 v8, v0, v4
	v_dual_fmac_f32 v67, -0.5, v8 :: v_dual_add_f32 v8, v27, v37
	v_sub_f32_e32 v37, v35, v0
	s_delay_alu instid0(VALU_DEP_2) | instskip(SKIP_3) | instid1(VALU_DEP_4)
	v_dual_sub_f32 v0, v0, v4 :: v_dual_fmamk_f32 v27, v25, 0x3f737871, v67
	v_fmac_f32_e32 v67, 0xbf737871, v25
	v_sub_f32_e32 v25, v35, v36
	v_sub_f32_e32 v35, v6, v7
	v_fmac_f32_e32 v27, 0xbf167918, v28
	v_sub_f32_e32 v38, v36, v4
	v_add_f32_e32 v2, v2, v4
	v_dual_fmac_f32 v3, 0x3e9e377a, v8 :: v_dual_sub_f32 v36, v5, v1
	v_fmac_f32_e32 v67, 0x3f167918, v28
	s_delay_alu instid0(VALU_DEP_4)
	v_add_f32_e32 v37, v37, v38
	v_add_f32_e32 v38, v68, v6
	v_fmac_f32_e32 v26, 0x3e9e377a, v8
	v_fmamk_f32 v8, v0, 0x3f737871, v39
	v_fmac_f32_e32 v39, 0xbf737871, v0
	v_add_f32_e32 v28, v35, v36
	v_add_f32_e32 v4, v38, v7
	;; [unrolled: 1-line block ×3, first 2 shown]
	v_fmac_f32_e32 v67, 0x3e9e377a, v37
	v_fmac_f32_e32 v39, 0xbf167918, v25
	s_delay_alu instid0(VALU_DEP_3) | instskip(SKIP_4) | instid1(VALU_DEP_4)
	v_dual_fmac_f32 v27, 0x3e9e377a, v37 :: v_dual_fmac_f32 v68, -0.5, v38
	v_add_f32_e32 v4, v4, v1
	v_sub_f32_e32 v1, v1, v5
	v_fmac_f32_e32 v8, 0x3f167918, v25
	v_fmac_f32_e32 v39, 0x3e9e377a, v28
	v_dual_fmamk_f32 v35, v25, 0xbf737871, v68 :: v_dual_add_f32 v4, v4, v5
	s_wait_loadcnt 0x8
	v_mul_f32_e32 v5, v11, v14
	s_wait_loadcnt 0x6
	v_dual_sub_f32 v6, v7, v6 :: v_dual_mul_f32 v7, v29, v32
	v_fmac_f32_e32 v35, 0x3f167918, v0
	v_fmac_f32_e32 v68, 0x3f737871, v25
	v_dual_fmac_f32 v5, v12, v13 :: v_dual_fmac_f32 v8, 0x3e9e377a, v28
	s_delay_alu instid0(VALU_DEP_4) | instskip(NEXT) | instid1(VALU_DEP_3)
	v_dual_add_f32 v1, v6, v1 :: v_dual_mul_f32 v6, v12, v14
	v_fmac_f32_e32 v68, 0xbf167918, v0
	s_delay_alu instid0(VALU_DEP_3) | instskip(SKIP_1) | instid1(VALU_DEP_3)
	v_mul_f32_e32 v0, v4, v5
	s_wait_loadcnt 0x0
	v_dual_mul_f32 v14, v9, v16 :: v_dual_fmac_f32 v35, 0x3e9e377a, v1
	v_fma_f32 v6, v11, v13, -v6
	v_dual_fmac_f32 v68, 0x3e9e377a, v1 :: v_dual_mul_f32 v11, v21, v24
	v_mul_f32_e32 v1, v2, v5
	v_mul_f32_e32 v5, v30, v32
	s_delay_alu instid0(VALU_DEP_4)
	v_fmac_f32_e32 v0, v2, v6
	v_mul_f32_e32 v16, v10, v16
	v_fmac_f32_e32 v14, v10, v15
	v_fma_f32 v1, v4, v6, -v1
	v_fma_f32 v5, v29, v31, -v5
	v_fmac_f32_e32 v7, v30, v31
	v_fma_f32 v10, v9, v15, -v16
	v_mul_f32_e32 v9, v39, v14
	v_fmac_f32_e32 v11, v22, v23
	v_mul_f32_e32 v4, v22, v24
	v_dual_mul_f32 v2, v8, v7 :: v_dual_mul_f32 v15, v26, v14
	v_add_nc_u32_e32 v24, 0x9e, v103
	s_delay_alu instid0(VALU_DEP_2) | instskip(SKIP_1) | instid1(VALU_DEP_1)
	v_fmac_f32_e32 v2, v3, v5
	v_dual_mul_f32 v6, v3, v7 :: v_dual_mul_f32 v7, v17, v20
	v_fma_f32 v3, v8, v5, -v6
	s_delay_alu instid0(VALU_DEP_2) | instskip(SKIP_3) | instid1(VALU_DEP_4)
	v_fmac_f32_e32 v7, v18, v19
	v_dual_mul_f32 v12, v18, v20 :: v_dual_mul_f32 v5, v27, v11
	v_fma_f32 v13, v21, v23, -v4
	v_mul_f32_e32 v4, v35, v11
	v_mul_f32_e32 v6, v68, v7
	;; [unrolled: 1-line block ×3, first 2 shown]
	v_fma_f32 v8, v17, v19, -v12
	v_mad_co_u64_u32 v[11:12], null, s4, v105, 0
	v_add_nc_u32_e32 v19, 62, v103
	s_delay_alu instid0(VALU_DEP_3) | instskip(SKIP_4) | instid1(VALU_DEP_1)
	v_dual_fmac_f32 v6, v67, v8 :: v_dual_add_nc_u32 v21, 0x5e, v103
	v_fma_f32 v7, v68, v8, -v7
	v_fmac_f32_e32 v4, v27, v13
	v_fma_f32 v5, v35, v13, -v5
	v_dual_mov_b32 v8, v12 :: v_dual_add_nc_u32 v23, 0x7e, v103
	v_mad_co_u64_u32 v[12:13], null, s5, v105, v[8:9]
	v_mad_co_u64_u32 v[13:14], null, s4, v19, 0
	v_fmac_f32_e32 v9, v26, v10
	v_fma_f32 v10, v39, v10, -v15
	v_mad_co_u64_u32 v[15:16], null, s4, v21, 0
	v_lshlrev_b64_e32 v[11:12], 3, v[11:12]
	v_mad_co_u64_u32 v[17:18], null, s4, v23, 0
	v_mov_b32_e32 v8, v14
	s_delay_alu instid0(VALU_DEP_4) | instskip(NEXT) | instid1(VALU_DEP_4)
	v_mov_b32_e32 v14, v16
	v_add_co_u32 v11, vcc_lo, v33, v11
	s_delay_alu instid0(VALU_DEP_3) | instskip(NEXT) | instid1(VALU_DEP_3)
	v_mad_co_u64_u32 v[19:20], null, s5, v19, v[8:9]
	v_mad_co_u64_u32 v[20:21], null, s5, v21, v[14:15]
	;; [unrolled: 1-line block ×3, first 2 shown]
	s_wait_alu 0xfffd
	v_add_co_ci_u32_e32 v12, vcc_lo, v34, v12, vcc_lo
	v_mov_b32_e32 v8, v18
	v_mov_b32_e32 v14, v19
	;; [unrolled: 1-line block ×3, first 2 shown]
	global_store_b64 v[11:12], v[0:1], off
	v_mov_b32_e32 v0, v22
                                        ; kill: def $vgpr1 killed $sgpr0 killed $exec
	v_mad_co_u64_u32 v[18:19], null, s5, v23, v[8:9]
	v_lshlrev_b64_e32 v[11:12], 3, v[13:14]
	v_lshlrev_b64_e32 v[13:14], 3, v[15:16]
	s_delay_alu instid0(VALU_DEP_4) | instskip(NEXT) | instid1(VALU_DEP_3)
	v_mad_co_u64_u32 v[0:1], null, s5, v24, v[0:1]
	v_add_co_u32 v11, vcc_lo, v33, v11
	s_wait_alu 0xfffd
	s_delay_alu instid0(VALU_DEP_4) | instskip(NEXT) | instid1(VALU_DEP_3)
	v_add_co_ci_u32_e32 v12, vcc_lo, v34, v12, vcc_lo
	v_mov_b32_e32 v22, v0
	v_lshlrev_b64_e32 v[15:16], 3, v[17:18]
	v_add_co_u32 v0, vcc_lo, v33, v13
	s_wait_alu 0xfffd
	v_add_co_ci_u32_e32 v1, vcc_lo, v34, v14, vcc_lo
	v_lshlrev_b64_e32 v[13:14], 3, v[21:22]
	s_delay_alu instid0(VALU_DEP_4) | instskip(SKIP_2) | instid1(VALU_DEP_3)
	v_add_co_u32 v15, vcc_lo, v33, v15
	s_wait_alu 0xfffd
	v_add_co_ci_u32_e32 v16, vcc_lo, v34, v16, vcc_lo
	v_add_co_u32 v13, vcc_lo, v33, v13
	s_wait_alu 0xfffd
	v_add_co_ci_u32_e32 v14, vcc_lo, v34, v14, vcc_lo
	s_clause 0x3
	global_store_b64 v[11:12], v[2:3], off
	global_store_b64 v[0:1], v[4:5], off
	;; [unrolled: 1-line block ×4, first 2 shown]
	s_nop 0
	s_sendmsg sendmsg(MSG_DEALLOC_VGPRS)
	s_endpgm
	.section	.rodata,"a",@progbits
	.p2align	6, 0x0
	.amdhsa_kernel fft_rtc_back_len160_factors_2_4_4_5_wgs_200_tpt_10_dim3_sp_ip_CI_sbcc_twdbase8_2step_dirReg
		.amdhsa_group_segment_fixed_size 0
		.amdhsa_private_segment_fixed_size 0
		.amdhsa_kernarg_size 88
		.amdhsa_user_sgpr_count 2
		.amdhsa_user_sgpr_dispatch_ptr 0
		.amdhsa_user_sgpr_queue_ptr 0
		.amdhsa_user_sgpr_kernarg_segment_ptr 1
		.amdhsa_user_sgpr_dispatch_id 0
		.amdhsa_user_sgpr_private_segment_size 0
		.amdhsa_wavefront_size32 1
		.amdhsa_uses_dynamic_stack 0
		.amdhsa_enable_private_segment 0
		.amdhsa_system_sgpr_workgroup_id_x 1
		.amdhsa_system_sgpr_workgroup_id_y 0
		.amdhsa_system_sgpr_workgroup_id_z 0
		.amdhsa_system_sgpr_workgroup_info 0
		.amdhsa_system_vgpr_workitem_id 0
		.amdhsa_next_free_vgpr 139
		.amdhsa_next_free_sgpr 25
		.amdhsa_reserve_vcc 1
		.amdhsa_float_round_mode_32 0
		.amdhsa_float_round_mode_16_64 0
		.amdhsa_float_denorm_mode_32 3
		.amdhsa_float_denorm_mode_16_64 3
		.amdhsa_fp16_overflow 0
		.amdhsa_workgroup_processor_mode 1
		.amdhsa_memory_ordered 1
		.amdhsa_forward_progress 0
		.amdhsa_round_robin_scheduling 0
		.amdhsa_exception_fp_ieee_invalid_op 0
		.amdhsa_exception_fp_denorm_src 0
		.amdhsa_exception_fp_ieee_div_zero 0
		.amdhsa_exception_fp_ieee_overflow 0
		.amdhsa_exception_fp_ieee_underflow 0
		.amdhsa_exception_fp_ieee_inexact 0
		.amdhsa_exception_int_div_zero 0
	.end_amdhsa_kernel
	.text
.Lfunc_end0:
	.size	fft_rtc_back_len160_factors_2_4_4_5_wgs_200_tpt_10_dim3_sp_ip_CI_sbcc_twdbase8_2step_dirReg, .Lfunc_end0-fft_rtc_back_len160_factors_2_4_4_5_wgs_200_tpt_10_dim3_sp_ip_CI_sbcc_twdbase8_2step_dirReg
                                        ; -- End function
	.section	.AMDGPU.csdata,"",@progbits
; Kernel info:
; codeLenInByte = 13088
; NumSgprs: 27
; NumVgprs: 139
; ScratchSize: 0
; MemoryBound: 0
; FloatMode: 240
; IeeeMode: 1
; LDSByteSize: 0 bytes/workgroup (compile time only)
; SGPRBlocks: 3
; VGPRBlocks: 17
; NumSGPRsForWavesPerEU: 27
; NumVGPRsForWavesPerEU: 139
; Occupancy: 10
; WaveLimiterHint : 1
; COMPUTE_PGM_RSRC2:SCRATCH_EN: 0
; COMPUTE_PGM_RSRC2:USER_SGPR: 2
; COMPUTE_PGM_RSRC2:TRAP_HANDLER: 0
; COMPUTE_PGM_RSRC2:TGID_X_EN: 1
; COMPUTE_PGM_RSRC2:TGID_Y_EN: 0
; COMPUTE_PGM_RSRC2:TGID_Z_EN: 0
; COMPUTE_PGM_RSRC2:TIDIG_COMP_CNT: 0
	.text
	.p2alignl 7, 3214868480
	.fill 96, 4, 3214868480
	.type	__hip_cuid_f001f508214d7cfa,@object ; @__hip_cuid_f001f508214d7cfa
	.section	.bss,"aw",@nobits
	.globl	__hip_cuid_f001f508214d7cfa
__hip_cuid_f001f508214d7cfa:
	.byte	0                               ; 0x0
	.size	__hip_cuid_f001f508214d7cfa, 1

	.ident	"AMD clang version 19.0.0git (https://github.com/RadeonOpenCompute/llvm-project roc-6.4.0 25133 c7fe45cf4b819c5991fe208aaa96edf142730f1d)"
	.section	".note.GNU-stack","",@progbits
	.addrsig
	.addrsig_sym __hip_cuid_f001f508214d7cfa
	.amdgpu_metadata
---
amdhsa.kernels:
  - .args:
      - .actual_access:  read_only
        .address_space:  global
        .offset:         0
        .size:           8
        .value_kind:     global_buffer
      - .address_space:  global
        .offset:         8
        .size:           8
        .value_kind:     global_buffer
      - .actual_access:  read_only
        .address_space:  global
        .offset:         16
        .size:           8
        .value_kind:     global_buffer
      - .actual_access:  read_only
        .address_space:  global
        .offset:         24
        .size:           8
        .value_kind:     global_buffer
      - .offset:         32
        .size:           8
        .value_kind:     by_value
      - .actual_access:  read_only
        .address_space:  global
        .offset:         40
        .size:           8
        .value_kind:     global_buffer
      - .actual_access:  read_only
        .address_space:  global
        .offset:         48
        .size:           8
        .value_kind:     global_buffer
      - .offset:         56
        .size:           4
        .value_kind:     by_value
      - .actual_access:  read_only
        .address_space:  global
        .offset:         64
        .size:           8
        .value_kind:     global_buffer
      - .actual_access:  read_only
        .address_space:  global
        .offset:         72
        .size:           8
        .value_kind:     global_buffer
      - .address_space:  global
        .offset:         80
        .size:           8
        .value_kind:     global_buffer
    .group_segment_fixed_size: 0
    .kernarg_segment_align: 8
    .kernarg_segment_size: 88
    .language:       OpenCL C
    .language_version:
      - 2
      - 0
    .max_flat_workgroup_size: 200
    .name:           fft_rtc_back_len160_factors_2_4_4_5_wgs_200_tpt_10_dim3_sp_ip_CI_sbcc_twdbase8_2step_dirReg
    .private_segment_fixed_size: 0
    .sgpr_count:     27
    .sgpr_spill_count: 0
    .symbol:         fft_rtc_back_len160_factors_2_4_4_5_wgs_200_tpt_10_dim3_sp_ip_CI_sbcc_twdbase8_2step_dirReg.kd
    .uniform_work_group_size: 1
    .uses_dynamic_stack: false
    .vgpr_count:     139
    .vgpr_spill_count: 0
    .wavefront_size: 32
    .workgroup_processor_mode: 1
amdhsa.target:   amdgcn-amd-amdhsa--gfx1201
amdhsa.version:
  - 1
  - 2
...

	.end_amdgpu_metadata
